;; amdgpu-corpus repo=ROCm/rocFFT kind=compiled arch=gfx1030 opt=O3
	.text
	.amdgcn_target "amdgcn-amd-amdhsa--gfx1030"
	.amdhsa_code_object_version 6
	.protected	bluestein_single_back_len1540_dim1_dp_op_CI_CI ; -- Begin function bluestein_single_back_len1540_dim1_dp_op_CI_CI
	.globl	bluestein_single_back_len1540_dim1_dp_op_CI_CI
	.p2align	8
	.type	bluestein_single_back_len1540_dim1_dp_op_CI_CI,@function
bluestein_single_back_len1540_dim1_dp_op_CI_CI: ; @bluestein_single_back_len1540_dim1_dp_op_CI_CI
; %bb.0:
	s_load_dwordx4 s[0:3], s[4:5], 0x28
	v_mul_u32_u24_e32 v1, 0x1aa, v0
	v_mov_b32_e32 v165, 0
	v_lshrrev_b32_e32 v1, 16, v1
	v_add_nc_u32_e32 v164, s6, v1
	s_waitcnt lgkmcnt(0)
	v_cmp_gt_u64_e32 vcc_lo, s[0:1], v[164:165]
	s_and_saveexec_b32 s0, vcc_lo
	s_cbranch_execz .LBB0_23
; %bb.1:
	s_clause 0x1
	s_load_dwordx2 s[14:15], s[4:5], 0x0
	s_load_dwordx2 s[12:13], s[4:5], 0x38
	v_mul_lo_u16 v1, 0x9a, v1
	v_sub_nc_u16 v0, v0, v1
	v_and_b32_e32 v226, 0xffff, v0
	v_cmp_gt_u16_e32 vcc_lo, 0x8c, v0
	v_lshlrev_b32_e32 v225, 4, v226
	s_and_saveexec_b32 s1, vcc_lo
	s_cbranch_execz .LBB0_3
; %bb.2:
	s_load_dwordx2 s[6:7], s[4:5], 0x18
	s_waitcnt lgkmcnt(0)
	v_add_co_u32 v10, s0, s14, v225
	v_add_co_ci_u32_e64 v11, null, s15, 0, s0
	global_load_dwordx4 v[0:3], v225, s[14:15]
	v_add_co_u32 v4, s0, 0x800, v10
	v_add_co_ci_u32_e64 v5, s0, 0, v11, s0
	v_add_co_u32 v8, s0, 0x1000, v10
	v_add_co_ci_u32_e64 v9, s0, 0, v11, s0
	;; [unrolled: 2-line block ×3, first 2 shown]
	v_add_co_u32 v16, s0, 0x2000, v10
	s_load_dwordx4 s[8:11], s[6:7], 0x0
	v_add_co_ci_u32_e64 v17, s0, 0, v11, s0
	v_add_co_u32 v20, s0, 0x2800, v10
	v_add_co_ci_u32_e64 v21, s0, 0, v11, s0
	v_add_co_u32 v24, s0, 0x3000, v10
	;; [unrolled: 2-line block ×5, first 2 shown]
	s_waitcnt lgkmcnt(0)
	v_mad_u64_u32 v[26:27], null, s10, v164, 0
	v_mad_u64_u32 v[28:29], null, s8, v226, 0
	v_add_co_ci_u32_e64 v77, s0, 0, v11, s0
	v_add_co_u32 v80, s0, 0x5000, v10
	v_mov_b32_e32 v6, v27
	v_add_co_ci_u32_e64 v81, s0, 0, v11, s0
	v_mov_b32_e32 v7, v29
	s_mul_i32 s6, s9, 0x8c0
	s_mul_hi_u32 s7, s8, 0x8c0
	s_add_i32 s7, s7, s6
	v_mad_u64_u32 v[14:15], null, s11, v164, v[6:7]
	v_mad_u64_u32 v[32:33], null, s9, v226, v[7:8]
	s_clause 0x1
	global_load_dwordx4 v[4:7], v[4:5], off offset:192
	global_load_dwordx4 v[8:11], v[8:9], off offset:384
	v_mov_b32_e32 v27, v14
	s_clause 0x2
	global_load_dwordx4 v[12:15], v[12:13], off offset:576
	global_load_dwordx4 v[16:19], v[16:17], off offset:768
	;; [unrolled: 1-line block ×3, first 2 shown]
	v_mov_b32_e32 v29, v32
	v_lshlrev_b64 v[32:33], 4, v[26:27]
	global_load_dwordx4 v[24:27], v[24:25], off offset:1152
	v_lshlrev_b64 v[28:29], 4, v[28:29]
	v_add_co_u32 v32, s0, s2, v32
	v_add_co_ci_u32_e64 v33, s0, s3, v33, s0
	s_mul_i32 s2, s8, 0x8c0
	v_add_co_u32 v32, s0, v32, v28
	v_add_co_ci_u32_e64 v33, s0, v33, v29, s0
	global_load_dwordx4 v[28:31], v[30:31], off offset:1344
	v_add_co_u32 v36, s0, v32, s2
	v_add_co_ci_u32_e64 v37, s0, s7, v33, s0
	v_add_co_u32 v40, s0, v36, s2
	v_add_co_ci_u32_e64 v41, s0, s7, v37, s0
	s_clause 0x1
	global_load_dwordx4 v[32:35], v[32:33], off
	global_load_dwordx4 v[36:39], v[36:37], off
	v_add_co_u32 v44, s0, v40, s2
	v_add_co_ci_u32_e64 v45, s0, s7, v41, s0
	global_load_dwordx4 v[40:43], v[40:41], off
	v_add_co_u32 v48, s0, v44, s2
	v_add_co_ci_u32_e64 v49, s0, s7, v45, s0
	;; [unrolled: 3-line block ×8, first 2 shown]
	global_load_dwordx4 v[68:71], v[68:69], off offset:1536
	global_load_dwordx4 v[72:75], v[72:73], off
	s_clause 0x1
	global_load_dwordx4 v[76:79], v[76:77], off offset:1728
	global_load_dwordx4 v[80:83], v[80:81], off offset:1920
	global_load_dwordx4 v[84:87], v[84:85], off
	s_waitcnt vmcnt(13)
	v_mul_f64 v[88:89], v[34:35], v[2:3]
	v_mul_f64 v[2:3], v[32:33], v[2:3]
	s_waitcnt vmcnt(12)
	v_mul_f64 v[90:91], v[38:39], v[6:7]
	v_mul_f64 v[6:7], v[36:37], v[6:7]
	;; [unrolled: 3-line block ×8, first 2 shown]
	v_fma_f64 v[30:31], v[32:33], v[0:1], v[88:89]
	v_fma_f64 v[32:33], v[34:35], v[0:1], -v[2:3]
	v_fma_f64 v[0:1], v[36:37], v[4:5], v[90:91]
	v_fma_f64 v[2:3], v[38:39], v[4:5], -v[6:7]
	s_waitcnt vmcnt(4)
	v_mul_f64 v[106:107], v[66:67], v[70:71]
	v_mul_f64 v[70:71], v[64:65], v[70:71]
	s_waitcnt vmcnt(2)
	v_mul_f64 v[108:109], v[74:75], v[78:79]
	v_mul_f64 v[78:79], v[72:73], v[78:79]
	;; [unrolled: 3-line block ×3, first 2 shown]
	v_fma_f64 v[4:5], v[40:41], v[8:9], v[92:93]
	v_fma_f64 v[6:7], v[42:43], v[8:9], -v[10:11]
	v_fma_f64 v[8:9], v[44:45], v[12:13], v[94:95]
	v_fma_f64 v[10:11], v[46:47], v[12:13], -v[14:15]
	;; [unrolled: 2-line block ×9, first 2 shown]
	ds_write_b128 v225, v[30:33]
	ds_write_b128 v225, v[0:3] offset:2240
	ds_write_b128 v225, v[4:7] offset:4480
	ds_write_b128 v225, v[8:11] offset:6720
	ds_write_b128 v225, v[12:15] offset:8960
	ds_write_b128 v225, v[16:19] offset:11200
	ds_write_b128 v225, v[20:23] offset:13440
	ds_write_b128 v225, v[24:27] offset:15680
	ds_write_b128 v225, v[34:37] offset:17920
	ds_write_b128 v225, v[38:41] offset:20160
	ds_write_b128 v225, v[42:45] offset:22400
.LBB0_3:
	s_or_b32 exec_lo, exec_lo, s1
	s_clause 0x1
	s_load_dwordx2 s[0:1], s[4:5], 0x20
	s_load_dwordx2 s[2:3], s[4:5], 0x8
	s_waitcnt lgkmcnt(0)
	s_barrier
	buffer_gl0_inv
                                        ; implicit-def: $vgpr0_vgpr1
                                        ; implicit-def: $vgpr40_vgpr41
                                        ; implicit-def: $vgpr36_vgpr37
                                        ; implicit-def: $vgpr32_vgpr33
                                        ; implicit-def: $vgpr28_vgpr29
                                        ; implicit-def: $vgpr24_vgpr25
                                        ; implicit-def: $vgpr20_vgpr21
                                        ; implicit-def: $vgpr16_vgpr17
                                        ; implicit-def: $vgpr12_vgpr13
                                        ; implicit-def: $vgpr8_vgpr9
                                        ; implicit-def: $vgpr4_vgpr5
	s_and_saveexec_b32 s4, vcc_lo
	s_cbranch_execz .LBB0_5
; %bb.4:
	ds_read_b128 v[0:3], v225
	ds_read_b128 v[40:43], v225 offset:2240
	ds_read_b128 v[36:39], v225 offset:4480
	;; [unrolled: 1-line block ×10, first 2 shown]
.LBB0_5:
	s_or_b32 exec_lo, exec_lo, s4
	s_waitcnt lgkmcnt(0)
	v_add_f64 v[104:105], v[42:43], -v[6:7]
	v_add_f64 v[62:63], v[40:41], -v[4:5]
	s_mov_b32 s4, 0xf8bb580b
	s_mov_b32 s5, 0xbfe14ced
	v_add_f64 v[60:61], v[40:41], v[4:5]
	v_add_f64 v[100:101], v[42:43], v[6:7]
	v_add_f64 v[64:65], v[38:39], -v[10:11]
	v_add_f64 v[44:45], v[36:37], -v[8:9]
	s_mov_b32 s6, 0x8764f0ba
	s_mov_b32 s10, 0x8eee2c13
	;; [unrolled: 1-line block ×4, first 2 shown]
	v_add_f64 v[46:47], v[36:37], v[8:9]
	v_add_f64 v[82:83], v[38:39], v[10:11]
	v_add_f64 v[66:67], v[34:35], -v[14:15]
	v_add_f64 v[48:49], v[32:33], -v[12:13]
	s_mov_b32 s16, 0xd9c712b6
	s_mov_b32 s8, 0x43842ef
	;; [unrolled: 1-line block ×4, first 2 shown]
	v_add_f64 v[50:51], v[32:33], v[12:13]
	v_add_f64 v[88:89], v[34:35], v[14:15]
	v_mul_f64 v[78:79], v[104:105], s[4:5]
	v_mul_f64 v[86:87], v[62:63], s[4:5]
	v_add_f64 v[52:53], v[28:29], -v[16:17]
	v_add_f64 v[80:81], v[30:31], -v[18:19]
	s_mov_b32 s18, 0x640f44db
	s_mov_b32 s20, 0xbb3a28a1
	v_mul_f64 v[72:73], v[64:65], s[10:11]
	v_mul_f64 v[74:75], v[44:45], s[10:11]
	s_mov_b32 s19, 0xbfc2375f
	s_mov_b32 s21, 0xbfe82f19
	v_add_f64 v[102:103], v[30:31], v[18:19]
	v_add_f64 v[98:99], v[26:27], -v[22:23]
	s_mov_b32 s22, 0x7f775887
	s_mov_b32 s24, 0xfd768dbf
	v_mul_f64 v[76:77], v[66:67], s[8:9]
	v_mul_f64 v[90:91], v[48:49], s[8:9]
	s_mov_b32 s23, 0xbfe4f49e
	s_mov_b32 s25, 0xbfd207e7
	v_add_f64 v[106:107], v[26:27], v[22:23]
	s_mov_b32 s26, 0x9bcd5057
	s_mov_b32 s27, 0xbfeeb42a
	v_mul_lo_u16 v228, v226, 11
	v_fma_f64 v[54:55], v[60:61], s[6:7], v[78:79]
	v_fma_f64 v[56:57], v[100:101], s[6:7], -v[86:87]
	v_mul_f64 v[96:97], v[52:53], s[20:21]
	v_mul_f64 v[92:93], v[80:81], s[20:21]
	s_barrier
	v_fma_f64 v[58:59], v[46:47], s[16:17], v[72:73]
	v_fma_f64 v[68:69], v[82:83], s[16:17], -v[74:75]
	buffer_gl0_inv
	v_fma_f64 v[108:109], v[50:51], s[18:19], v[76:77]
	v_fma_f64 v[110:111], v[88:89], s[18:19], -v[90:91]
	v_add_f64 v[70:71], v[0:1], v[54:55]
	v_add_f64 v[84:85], v[2:3], v[56:57]
	;; [unrolled: 1-line block ×3, first 2 shown]
	v_add_f64 v[56:57], v[24:25], -v[20:21]
	v_fma_f64 v[114:115], v[102:103], s[22:23], -v[96:97]
	v_add_f64 v[70:71], v[58:59], v[70:71]
	v_add_f64 v[68:69], v[68:69], v[84:85]
	;; [unrolled: 1-line block ×3, first 2 shown]
	v_mul_f64 v[84:85], v[98:99], s[24:25]
	v_mul_f64 v[94:95], v[56:57], s[24:25]
	v_fma_f64 v[112:113], v[54:55], s[22:23], v[92:93]
	v_add_f64 v[70:71], v[108:109], v[70:71]
	v_add_f64 v[68:69], v[110:111], v[68:69]
	v_fma_f64 v[108:109], v[58:59], s[26:27], v[84:85]
	v_fma_f64 v[110:111], v[106:107], s[26:27], -v[94:95]
	v_add_f64 v[70:71], v[112:113], v[70:71]
	v_add_f64 v[112:113], v[114:115], v[68:69]
	;; [unrolled: 1-line block ×4, first 2 shown]
	s_and_saveexec_b32 s33, vcc_lo
	s_cbranch_execz .LBB0_7
; %bb.6:
	v_mul_f64 v[108:109], v[100:101], s[26:27]
	v_mul_f64 v[112:113], v[100:101], s[22:23]
	v_add_f64 v[42:43], v[2:3], v[42:43]
	v_add_f64 v[40:41], v[0:1], v[40:41]
	s_mov_b32 s37, 0x3fd207e7
	s_mov_b32 s36, s24
	;; [unrolled: 1-line block ×4, first 2 shown]
	v_mul_f64 v[110:111], v[104:105], s[24:25]
	v_mul_f64 v[114:115], v[104:105], s[20:21]
	;; [unrolled: 1-line block ×4, first 2 shown]
	s_mov_b32 s29, 0x3fe14ced
	s_mov_b32 s28, s4
	;; [unrolled: 1-line block ×4, first 2 shown]
	v_mul_f64 v[120:121], v[64:65], s[28:29]
	v_mul_f64 v[122:123], v[88:89], s[22:23]
	;; [unrolled: 1-line block ×6, first 2 shown]
	v_fma_f64 v[124:125], v[62:63], s[36:37], v[108:109]
	v_fma_f64 v[108:109], v[62:63], s[24:25], v[108:109]
	;; [unrolled: 1-line block ×3, first 2 shown]
	v_add_f64 v[38:39], v[42:43], v[38:39]
	v_add_f64 v[36:37], v[40:41], v[36:37]
	v_mul_f64 v[40:41], v[64:65], s[34:35]
	v_fma_f64 v[112:113], v[62:63], s[20:21], v[112:113]
	s_mov_b32 s39, 0x3fed1bb4
	v_fma_f64 v[126:127], v[60:61], s[26:27], v[110:111]
	v_fma_f64 v[110:111], v[60:61], s[26:27], -v[110:111]
	v_fma_f64 v[42:43], v[60:61], s[22:23], v[114:115]
	v_fma_f64 v[114:115], v[60:61], s[22:23], -v[114:115]
	v_fma_f64 v[140:141], v[44:45], s[4:5], v[116:117]
	v_fma_f64 v[116:117], v[44:45], s[28:29], v[116:117]
	;; [unrolled: 1-line block ×5, first 2 shown]
	v_fma_f64 v[120:121], v[46:47], s[6:7], -v[120:121]
	v_fma_f64 v[152:153], v[48:49], s[28:29], v[132:133]
	s_mov_b32 s38, s10
	v_mul_f64 v[138:139], v[102:103], s[16:17]
	v_mul_f64 v[148:149], v[82:83], s[26:27]
	v_add_f64 v[124:125], v[2:3], v[124:125]
	v_add_f64 v[108:109], v[2:3], v[108:109]
	;; [unrolled: 1-line block ×5, first 2 shown]
	v_fma_f64 v[36:37], v[48:49], s[30:31], v[122:123]
	v_fma_f64 v[154:155], v[46:47], s[18:19], v[40:41]
	v_fma_f64 v[40:41], v[46:47], s[18:19], -v[40:41]
	v_add_f64 v[126:127], v[0:1], v[126:127]
	v_add_f64 v[110:111], v[0:1], v[110:111]
	v_add_f64 v[112:113], v[2:3], v[112:113]
	v_add_f64 v[114:115], v[0:1], v[114:115]
	v_fma_f64 v[38:39], v[50:51], s[22:23], v[130:131]
	v_fma_f64 v[122:123], v[48:49], s[20:21], v[122:123]
	v_fma_f64 v[130:131], v[50:51], s[22:23], -v[130:131]
	v_mul_f64 v[146:147], v[102:103], s[26:27]
	v_mul_f64 v[150:151], v[80:81], s[38:39]
	v_add_f64 v[42:43], v[0:1], v[42:43]
	v_add_f64 v[124:125], v[140:141], v[124:125]
	;; [unrolled: 1-line block ×6, first 2 shown]
	v_mul_f64 v[128:129], v[80:81], s[24:25]
	v_fma_f64 v[142:143], v[62:63], s[34:35], v[134:135]
	v_fma_f64 v[32:33], v[48:49], s[4:5], v[132:133]
	v_add_f64 v[126:127], v[144:145], v[126:127]
	v_add_f64 v[110:111], v[120:121], v[110:111]
	v_mul_f64 v[120:121], v[104:105], s[8:9]
	v_add_f64 v[112:113], v[118:119], v[112:113]
	v_add_f64 v[40:41], v[40:41], v[114:115]
	v_mul_f64 v[104:105], v[104:105], s[10:11]
	v_fma_f64 v[34:35], v[50:51], s[6:7], -v[136:137]
	v_mul_f64 v[140:141], v[88:89], s[16:17]
	v_fma_f64 v[144:145], v[50:51], s[6:7], v[136:137]
	v_fma_f64 v[132:133], v[52:53], s[10:11], v[138:139]
	;; [unrolled: 1-line block ×6, first 2 shown]
	v_add_f64 v[36:37], v[36:37], v[124:125]
	v_mul_f64 v[124:125], v[60:61], s[6:7]
	v_add_f64 v[114:115], v[152:153], v[116:117]
	v_mul_f64 v[116:117], v[100:101], s[16:17]
	v_mul_f64 v[100:101], v[100:101], s[6:7]
	v_add_f64 v[26:27], v[30:31], v[26:27]
	v_add_f64 v[24:25], v[28:29], v[24:25]
	;; [unrolled: 1-line block ×6, first 2 shown]
	v_fma_f64 v[30:31], v[60:61], s[18:19], v[120:121]
	v_fma_f64 v[126:127], v[62:63], s[8:9], v[134:135]
	v_mul_f64 v[130:131], v[46:47], s[16:17]
	v_mul_f64 v[134:135], v[82:83], s[16:17]
	v_fma_f64 v[142:143], v[54:55], s[26:27], v[128:129]
	v_add_f64 v[32:33], v[32:33], v[112:113]
	v_fma_f64 v[112:113], v[60:61], s[18:19], -v[120:121]
	v_fma_f64 v[120:121], v[54:55], s[26:27], -v[128:129]
	v_mul_f64 v[28:29], v[64:65], s[36:37]
	v_mul_f64 v[82:83], v[82:83], s[22:23]
	;; [unrolled: 1-line block ×3, first 2 shown]
	v_add_f64 v[34:35], v[34:35], v[40:41]
	v_add_f64 v[78:79], v[124:125], -v[78:79]
	v_fma_f64 v[150:151], v[54:55], s[16:17], -v[150:151]
	v_fma_f64 v[128:129], v[62:63], s[38:39], v[116:117]
	v_fma_f64 v[62:63], v[62:63], s[10:11], v[116:117]
	;; [unrolled: 1-line block ×3, first 2 shown]
	v_fma_f64 v[60:61], v[60:61], s[16:17], -v[104:105]
	v_add_f64 v[86:87], v[86:87], v[100:101]
	v_add_f64 v[22:23], v[26:27], v[22:23]
	;; [unrolled: 1-line block ×3, first 2 shown]
	v_mul_f64 v[104:105], v[50:51], s[18:19]
	v_add_f64 v[26:27], v[0:1], v[30:31]
	v_fma_f64 v[30:31], v[44:45], s[36:37], v[148:149]
	v_add_f64 v[126:127], v[2:3], v[126:127]
	v_mul_f64 v[100:101], v[88:89], s[18:19]
	v_add_f64 v[74:75], v[74:75], v[134:135]
	v_add_f64 v[72:73], v[130:131], -v[72:73]
	v_add_f64 v[112:113], v[0:1], v[112:113]
	v_mul_f64 v[88:89], v[88:89], s[26:27]
	v_fma_f64 v[24:25], v[46:47], s[26:27], v[28:29]
	v_fma_f64 v[28:29], v[46:47], s[26:27], -v[28:29]
	v_add_f64 v[36:37], v[132:133], v[36:37]
	v_add_f64 v[40:41], v[136:137], v[108:109]
	;; [unrolled: 1-line block ×3, first 2 shown]
	v_fma_f64 v[122:123], v[48:49], s[10:11], v[140:141]
	v_add_f64 v[128:129], v[2:3], v[128:129]
	v_add_f64 v[62:63], v[2:3], v[62:63]
	;; [unrolled: 1-line block ×6, first 2 shown]
	v_fma_f64 v[78:79], v[44:45], s[20:21], v[82:83]
	v_add_f64 v[18:19], v[22:23], v[18:19]
	v_add_f64 v[16:17], v[20:21], v[16:17]
	v_mul_f64 v[20:21], v[66:67], s[36:37]
	v_fma_f64 v[22:23], v[46:47], s[22:23], -v[64:65]
	v_mul_f64 v[66:67], v[66:67], s[38:39]
	v_fma_f64 v[44:45], v[44:45], s[30:31], v[82:83]
	v_fma_f64 v[46:47], v[46:47], s[22:23], v[64:65]
	v_mul_f64 v[132:133], v[54:55], s[22:23]
	v_add_f64 v[34:35], v[120:121], v[34:35]
	v_mul_f64 v[120:121], v[102:103], s[22:23]
	v_add_f64 v[30:31], v[30:31], v[126:127]
	v_mul_f64 v[130:131], v[102:103], s[6:7]
	v_fma_f64 v[136:137], v[48:49], s[38:39], v[140:141]
	v_add_f64 v[90:91], v[90:91], v[100:101]
	v_add_f64 v[76:77], v[104:105], -v[76:77]
	v_add_f64 v[108:109], v[150:151], v[110:111]
	v_add_f64 v[110:111], v[138:139], v[114:115]
	v_fma_f64 v[114:115], v[52:53], s[24:25], v[146:147]
	v_mul_f64 v[102:103], v[102:103], s[18:19]
	v_add_f64 v[2:3], v[74:75], v[2:3]
	v_add_f64 v[0:1], v[72:73], v[0:1]
	;; [unrolled: 1-line block ×3, first 2 shown]
	v_mul_f64 v[78:79], v[80:81], s[4:5]
	v_fma_f64 v[100:101], v[48:49], s[36:37], v[88:89]
	v_mul_f64 v[80:81], v[80:81], s[34:35]
	v_fma_f64 v[72:73], v[50:51], s[26:27], -v[20:21]
	v_add_f64 v[22:23], v[22:23], v[60:61]
	v_add_f64 v[28:29], v[28:29], v[112:113]
	v_fma_f64 v[60:61], v[50:51], s[16:17], -v[66:67]
	v_add_f64 v[42:43], v[154:155], v[42:43]
	v_add_f64 v[24:25], v[24:25], v[26:27]
	v_fma_f64 v[66:67], v[50:51], s[16:17], v[66:67]
	v_fma_f64 v[48:49], v[48:49], s[24:25], v[88:89]
	v_add_f64 v[44:45], v[44:45], v[128:129]
	v_fma_f64 v[20:21], v[50:51], s[26:27], v[20:21]
	v_add_f64 v[46:47], v[46:47], v[116:117]
	v_add_f64 v[14:15], v[18:19], v[14:15]
	;; [unrolled: 1-line block ×4, first 2 shown]
	v_mul_f64 v[122:123], v[58:59], s[26:27]
	v_mul_f64 v[86:87], v[106:107], s[26:27]
	;; [unrolled: 1-line block ×3, first 2 shown]
	v_fma_f64 v[50:51], v[52:53], s[4:5], v[130:131]
	v_add_f64 v[30:31], v[136:137], v[30:31]
	v_add_f64 v[96:97], v[96:97], v[120:121]
	;; [unrolled: 1-line block ×3, first 2 shown]
	v_add_f64 v[90:91], v[132:133], -v[92:93]
	v_add_f64 v[0:1], v[76:77], v[0:1]
	v_mul_f64 v[124:125], v[106:107], s[18:19]
	v_add_f64 v[32:33], v[114:115], v[32:33]
	v_mul_f64 v[114:115], v[98:99], s[8:9]
	v_mul_f64 v[26:27], v[106:107], s[16:17]
	;; [unrolled: 1-line block ×6, first 2 shown]
	v_fma_f64 v[128:129], v[52:53], s[34:35], v[102:103]
	v_add_f64 v[62:63], v[100:101], v[62:63]
	v_fma_f64 v[100:101], v[54:55], s[18:19], -v[80:81]
	v_add_f64 v[16:17], v[72:73], v[22:23]
	v_fma_f64 v[116:117], v[54:55], s[6:7], -v[78:79]
	v_add_f64 v[18:19], v[60:61], v[28:29]
	v_add_f64 v[42:43], v[144:145], v[42:43]
	v_fma_f64 v[104:105], v[52:53], s[28:29], v[130:131]
	v_fma_f64 v[22:23], v[54:55], s[6:7], v[78:79]
	v_add_f64 v[24:25], v[66:67], v[24:25]
	v_fma_f64 v[28:29], v[52:53], s[8:9], v[102:103]
	v_add_f64 v[44:45], v[48:49], v[44:45]
	;; [unrolled: 2-line block ×3, first 2 shown]
	v_add_f64 v[78:79], v[14:15], v[10:11]
	v_add_f64 v[12:13], v[12:13], v[8:9]
	v_fma_f64 v[46:47], v[56:57], s[30:31], v[74:75]
	v_fma_f64 v[54:55], v[56:57], s[20:21], v[74:75]
	v_add_f64 v[30:31], v[50:51], v[30:31]
	v_add_f64 v[72:73], v[94:95], v[86:87]
	;; [unrolled: 1-line block ×3, first 2 shown]
	v_add_f64 v[76:77], v[122:123], -v[84:85]
	v_add_f64 v[80:81], v[90:91], v[0:1]
	v_fma_f64 v[82:83], v[56:57], s[10:11], v[26:27]
	v_fma_f64 v[26:27], v[56:57], s[38:39], v[26:27]
	;; [unrolled: 1-line block ×3, first 2 shown]
	v_add_f64 v[62:63], v[128:129], v[62:63]
	v_fma_f64 v[66:67], v[58:59], s[6:7], -v[98:99]
	v_add_f64 v[16:17], v[100:101], v[16:17]
	v_fma_f64 v[50:51], v[58:59], s[22:23], -v[88:89]
	v_add_f64 v[84:85], v[116:117], v[18:19]
	v_fma_f64 v[64:65], v[58:59], s[16:17], v[126:127]
	v_fma_f64 v[126:127], v[58:59], s[16:17], -v[126:127]
	v_fma_f64 v[112:113], v[56:57], s[34:35], v[124:125]
	v_fma_f64 v[134:135], v[58:59], s[18:19], v[114:115]
	;; [unrolled: 1-line block ×3, first 2 shown]
	v_fma_f64 v[114:115], v[58:59], s[18:19], -v[114:115]
	v_add_f64 v[38:39], v[156:157], v[38:39]
	v_add_f64 v[42:43], v[142:143], v[42:43]
	v_add_f64 v[52:53], v[104:105], v[118:119]
	v_fma_f64 v[86:87], v[58:59], s[22:23], v[88:89]
	v_add_f64 v[88:89], v[22:23], v[24:25]
	v_fma_f64 v[56:57], v[56:57], s[4:5], v[106:107]
	v_add_f64 v[44:45], v[28:29], v[44:45]
	;; [unrolled: 2-line block ×3, first 2 shown]
	v_add_f64 v[6:7], v[78:79], v[6:7]
	v_add_f64 v[4:5], v[12:13], v[4:5]
	;; [unrolled: 1-line block ×18, first 2 shown]
	v_mov_b32_e32 v40, 4
	v_add_f64 v[38:39], v[56:57], v[44:45]
	v_add_f64 v[36:37], v[58:59], v[48:49]
	v_lshlrev_b32_sdwa v40, v40, v228 dst_sel:DWORD dst_unused:UNUSED_PAD src0_sel:DWORD src1_sel:WORD_0
	ds_write_b128 v40, v[4:7]
	ds_write_b128 v40, v[28:31] offset:16
	ds_write_b128 v40, v[24:27] offset:32
	;; [unrolled: 1-line block ×10, first 2 shown]
.LBB0_7:
	s_or_b32 exec_lo, exec_lo, s33
	v_and_b32_e32 v0, 0xff, v226
	v_add_nc_u16 v124, v226, 0x9a
	v_mov_b32_e32 v2, 0xba2f
	v_add_co_u32 v3, null, 0x1ce, v226
	v_mul_lo_u16 v0, 0x75, v0
	v_add_co_u32 v4, null, 0x268, v226
	v_mul_u32_u24_sdwa v7, v3, v2 dst_sel:DWORD dst_unused:UNUSED_PAD src0_sel:WORD_0 src1_sel:DWORD
	v_mov_b32_e32 v23, 4
	v_lshrrev_b16 v0, 8, v0
	s_load_dwordx4 s[4:7], s[0:1], 0x0
	s_waitcnt lgkmcnt(0)
	v_lshrrev_b32_e32 v97, 19, v7
	s_barrier
	v_sub_nc_u16 v1, v226, v0
	buffer_gl0_inv
	v_lshlrev_b32_sdwa v227, v23, v226 dst_sel:DWORD dst_unused:UNUSED_PAD src0_sel:DWORD src1_sel:WORD_0
	v_cmp_gt_u16_e64 s0, 0x42, v226
                                        ; implicit-def: $vgpr112_vgpr113
                                        ; implicit-def: $vgpr116_vgpr117
                                        ; implicit-def: $vgpr120_vgpr121
	v_lshrrev_b16 v1, 1, v1
	v_and_b32_e32 v1, 0x7f, v1
	v_add_nc_u16 v0, v1, v0
	v_add_co_u32 v1, null, 0x134, v226
	v_lshrrev_b16 v86, 3, v0
	v_mul_u32_u24_sdwa v0, v124, v2 dst_sel:DWORD dst_unused:UNUSED_PAD src0_sel:WORD_0 src1_sel:DWORD
	v_mul_u32_u24_sdwa v5, v1, v2 dst_sel:DWORD dst_unused:UNUSED_PAD src0_sel:WORD_0 src1_sel:DWORD
	;; [unrolled: 1-line block ×3, first 2 shown]
	v_mul_lo_u16 v6, v86, 11
	v_lshrrev_b32_e32 v87, 19, v0
	v_lshrrev_b32_e32 v96, 19, v5
	;; [unrolled: 1-line block ×3, first 2 shown]
	v_sub_nc_u16 v5, v226, v6
	v_mul_lo_u16 v6, v87, 11
	v_mul_lo_u16 v2, v96, 11
	v_and_b32_e32 v99, 0xff, v5
	v_mul_lo_u16 v5, v97, 11
	v_sub_nc_u16 v100, v124, v6
	v_mul_lo_u16 v6, v98, 11
	v_sub_nc_u16 v101, v1, v2
	v_lshlrev_b32_e32 v1, 4, v99
	v_sub_nc_u16 v102, v3, v5
	v_lshlrev_b32_sdwa v2, v23, v100 dst_sel:DWORD dst_unused:UNUSED_PAD src0_sel:DWORD src1_sel:WORD_0
	v_sub_nc_u16 v103, v4, v6
	v_lshlrev_b32_sdwa v3, v23, v101 dst_sel:DWORD dst_unused:UNUSED_PAD src0_sel:DWORD src1_sel:WORD_0
	s_clause 0x1
	global_load_dwordx4 v[32:35], v1, s[2:3]
	global_load_dwordx4 v[36:39], v2, s[2:3]
	v_lshlrev_b32_sdwa v1, v23, v102 dst_sel:DWORD dst_unused:UNUSED_PAD src0_sel:DWORD src1_sel:WORD_0
	v_lshlrev_b32_sdwa v2, v23, v103 dst_sel:DWORD dst_unused:UNUSED_PAD src0_sel:DWORD src1_sel:WORD_0
	s_clause 0x2
	global_load_dwordx4 v[40:43], v3, s[2:3]
	global_load_dwordx4 v[28:31], v1, s[2:3]
	;; [unrolled: 1-line block ×3, first 2 shown]
	ds_read_b128 v[1:4], v227 offset:12320
	ds_read_b128 v[5:8], v227 offset:14784
	;; [unrolled: 1-line block ×6, first 2 shown]
	ds_read_b128 v[48:51], v227
	ds_read_b128 v[52:55], v227 offset:2464
	ds_read_b128 v[56:59], v227 offset:4928
	;; [unrolled: 1-line block ×3, first 2 shown]
	s_waitcnt vmcnt(0) lgkmcnt(0)
	s_barrier
	buffer_gl0_inv
	v_mul_f64 v[21:22], v[3:4], v[34:35]
	v_mul_f64 v[64:65], v[1:2], v[34:35]
	;; [unrolled: 1-line block ×10, first 2 shown]
	v_fma_f64 v[1:2], v[1:2], v[32:33], -v[21:22]
	v_fma_f64 v[3:4], v[3:4], v[32:33], v[64:65]
	v_fma_f64 v[5:6], v[5:6], v[36:37], -v[66:67]
	v_fma_f64 v[7:8], v[7:8], v[36:37], v[72:73]
	v_mov_b32_e32 v21, 22
	v_fma_f64 v[9:10], v[9:10], v[40:41], -v[74:75]
	v_fma_f64 v[11:12], v[11:12], v[40:41], v[76:77]
	v_fma_f64 v[13:14], v[13:14], v[28:29], -v[78:79]
	v_fma_f64 v[15:16], v[15:16], v[28:29], v[80:81]
	;; [unrolled: 2-line block ×3, first 2 shown]
	v_mul_u32_u24_sdwa v21, v86, v21 dst_sel:DWORD dst_unused:UNUSED_PAD src0_sel:WORD_0 src1_sel:DWORD
	v_mad_u16 v22, v87, 22, v100
	v_add_lshl_u32 v235, v21, v99, 4
	v_lshlrev_b32_sdwa v234, v23, v22 dst_sel:DWORD dst_unused:UNUSED_PAD src0_sel:DWORD src1_sel:WORD_0
	v_add_f64 v[1:2], v[48:49], -v[1:2]
	v_add_f64 v[3:4], v[50:51], -v[3:4]
	;; [unrolled: 1-line block ×10, first 2 shown]
	v_fma_f64 v[13:14], v[48:49], 2.0, -v[1:2]
	v_fma_f64 v[15:16], v[50:51], 2.0, -v[3:4]
	;; [unrolled: 1-line block ×10, first 2 shown]
	v_mad_u16 v44, v96, 22, v101
	v_mad_u16 v45, v97, 22, v102
	;; [unrolled: 1-line block ×3, first 2 shown]
	v_lshlrev_b32_sdwa v233, v23, v44 dst_sel:DWORD dst_unused:UNUSED_PAD src0_sel:DWORD src1_sel:WORD_0
	v_lshlrev_b32_sdwa v232, v23, v45 dst_sel:DWORD dst_unused:UNUSED_PAD src0_sel:DWORD src1_sel:WORD_0
	;; [unrolled: 1-line block ×3, first 2 shown]
	ds_write_b128 v235, v[1:4] offset:176
	ds_write_b128 v235, v[13:16]
	ds_write_b128 v234, v[17:20]
	ds_write_b128 v234, v[5:8] offset:176
	ds_write_b128 v233, v[48:51]
	ds_write_b128 v233, v[9:12] offset:176
	;; [unrolled: 2-line block ×4, first 2 shown]
	s_waitcnt lgkmcnt(0)
	s_barrier
	buffer_gl0_inv
	ds_read_b128 v[76:79], v227
	ds_read_b128 v[104:107], v227 offset:3520
	ds_read_b128 v[100:103], v227 offset:7040
	;; [unrolled: 1-line block ×6, first 2 shown]
	s_and_saveexec_b32 s1, s0
	s_cbranch_execz .LBB0_9
; %bb.8:
	ds_read_b128 v[72:75], v227 offset:2464
	ds_read_b128 v[92:95], v227 offset:5984
	;; [unrolled: 1-line block ×7, first 2 shown]
.LBB0_9:
	s_or_b32 exec_lo, exec_lo, s1
	v_lshrrev_b16 v1, 1, v226
	v_lshrrev_b32_e32 v229, 20, v0
	s_mov_b32 s10, 0x37e14327
	s_mov_b32 s8, 0x36b3c0b5
	;; [unrolled: 1-line block ×3, first 2 shown]
	v_and_b32_e32 v0, 0x7f, v1
	v_mul_lo_u16 v1, v229, 22
	s_mov_b32 s18, 0x429ad128
	s_mov_b32 s11, 0x3fe948f6
	;; [unrolled: 1-line block ×3, first 2 shown]
	v_mul_lo_u16 v0, 0xbb, v0
	v_sub_nc_u16 v230, v124, v1
	s_mov_b32 s21, 0xbfe11646
	s_mov_b32 s19, 0x3febfeb5
	;; [unrolled: 1-line block ×3, first 2 shown]
	v_lshrrev_b16 v125, 11, v0
	v_mul_lo_u16 v0, 0x60, v230
	s_mov_b32 s22, 0x5476071b
	s_mov_b32 s28, 0xb247c609
	;; [unrolled: 1-line block ×3, first 2 shown]
	v_mul_lo_u16 v1, v125, 22
	v_and_b32_e32 v0, 0xffff, v0
	s_mov_b32 s23, 0x3fe77f67
	s_mov_b32 s25, 0xbfe77f67
	;; [unrolled: 1-line block ×3, first 2 shown]
	v_sub_nc_u16 v1, v226, v1
	v_add_co_u32 v12, s1, s2, v0
	v_add_co_ci_u32_e64 v13, null, s3, 0, s1
	v_and_b32_e32 v126, 0xff, v1
	s_mov_b32 s31, 0xbfd5d0dc
	s_clause 0x2
	global_load_dwordx4 v[8:11], v[12:13], off offset:176
	global_load_dwordx4 v[4:7], v[12:13], off offset:192
	;; [unrolled: 1-line block ×3, first 2 shown]
	s_mov_b32 s24, s22
	v_mad_u64_u32 v[48:49], null, 0x60, v126, s[2:3]
	s_mov_b32 s30, s28
	s_mov_b32 s26, 0x37c3f68c
	s_mov_b32 s27, 0x3fdc38aa
	s_clause 0x8
	global_load_dwordx4 v[20:23], v[12:13], off offset:256
	global_load_dwordx4 v[16:19], v[12:13], off offset:240
	;; [unrolled: 1-line block ×9, first 2 shown]
	s_waitcnt vmcnt(0) lgkmcnt(0)
	s_barrier
	buffer_gl0_inv
	v_mul_f64 v[127:128], v[94:95], v[10:11]
	v_mul_f64 v[129:130], v[92:93], v[10:11]
	v_mul_f64 v[131:132], v[90:91], v[6:7]
	v_mul_f64 v[133:134], v[88:89], v[6:7]
	v_mul_f64 v[139:140], v[122:123], v[22:23]
	v_mul_f64 v[141:142], v[120:121], v[22:23]
	v_mul_f64 v[143:144], v[118:119], v[18:19]
	v_mul_f64 v[145:146], v[116:117], v[18:19]
	v_mul_f64 v[135:136], v[70:71], v[2:3]
	v_mul_f64 v[137:138], v[68:69], v[2:3]
	v_mul_f64 v[147:148], v[114:115], v[14:15]
	v_mul_f64 v[149:150], v[112:113], v[14:15]
	v_mul_f64 v[151:152], v[106:107], v[62:63]
	v_mul_f64 v[153:154], v[104:105], v[62:63]
	v_mul_f64 v[155:156], v[102:103], v[58:59]
	v_mul_f64 v[157:158], v[100:101], v[58:59]
	v_mul_f64 v[161:162], v[98:99], v[54:55]
	v_mul_f64 v[165:166], v[110:111], v[66:67]
	v_mul_f64 v[167:168], v[108:109], v[66:67]
	v_mul_f64 v[169:170], v[96:97], v[54:55]
	v_mul_f64 v[159:160], v[86:87], v[46:47]
	v_mul_f64 v[171:172], v[84:85], v[46:47]
	v_mul_f64 v[173:174], v[82:83], v[50:51]
	v_mul_f64 v[175:176], v[80:81], v[50:51]
	v_fma_f64 v[92:93], v[92:93], v[8:9], -v[127:128]
	v_fma_f64 v[94:95], v[94:95], v[8:9], v[129:130]
	v_fma_f64 v[88:89], v[88:89], v[4:5], -v[131:132]
	v_fma_f64 v[90:91], v[90:91], v[4:5], v[133:134]
	;; [unrolled: 2-line block ×12, first 2 shown]
	v_add_f64 v[127:128], v[92:93], v[120:121]
	v_add_f64 v[129:130], v[94:95], v[122:123]
	;; [unrolled: 1-line block ×4, first 2 shown]
	v_add_f64 v[92:93], v[92:93], -v[120:121]
	v_add_f64 v[88:89], v[88:89], -v[116:117]
	v_add_f64 v[116:117], v[68:69], v[112:113]
	v_add_f64 v[120:121], v[70:71], v[114:115]
	v_add_f64 v[90:91], v[90:91], -v[118:119]
	v_add_f64 v[68:69], v[112:113], -v[68:69]
	v_add_f64 v[70:71], v[114:115], -v[70:71]
	v_add_f64 v[94:95], v[94:95], -v[122:123]
	v_add_f64 v[112:113], v[104:105], v[108:109]
	v_add_f64 v[114:115], v[106:107], v[110:111]
	;; [unrolled: 1-line block ×4, first 2 shown]
	v_add_f64 v[104:105], v[104:105], -v[108:109]
	v_add_f64 v[106:107], v[106:107], -v[110:111]
	;; [unrolled: 1-line block ×4, first 2 shown]
	v_add_f64 v[100:101], v[84:85], v[80:81]
	v_add_f64 v[102:103], v[86:87], v[82:83]
	v_add_f64 v[80:81], v[80:81], -v[84:85]
	v_add_f64 v[82:83], v[82:83], -v[86:87]
	v_add_f64 v[84:85], v[131:132], v[127:128]
	v_add_f64 v[86:87], v[133:134], v[129:130]
	v_add_f64 v[108:109], v[131:132], -v[127:128]
	v_add_f64 v[110:111], v[133:134], -v[129:130]
	v_add_f64 v[127:128], v[127:128], -v[116:117]
	v_add_f64 v[129:130], v[129:130], -v[120:121]
	v_add_f64 v[131:132], v[116:117], -v[131:132]
	v_add_f64 v[135:136], v[68:69], v[88:89]
	v_add_f64 v[137:138], v[70:71], v[90:91]
	v_add_f64 v[139:140], v[68:69], -v[88:89]
	v_add_f64 v[141:142], v[70:71], -v[90:91]
	v_add_f64 v[143:144], v[92:93], -v[68:69]
	v_add_f64 v[145:146], v[94:95], -v[70:71]
	v_add_f64 v[68:69], v[118:119], v[112:113]
	v_add_f64 v[70:71], v[122:123], v[114:115]
	v_add_f64 v[133:134], v[120:121], -v[133:134]
	v_add_f64 v[88:89], v[88:89], -v[92:93]
	;; [unrolled: 1-line block ×5, first 2 shown]
	v_add_f64 v[151:152], v[80:81], v[96:97]
	v_add_f64 v[153:154], v[82:83], v[98:99]
	v_add_f64 v[155:156], v[80:81], -v[96:97]
	v_add_f64 v[157:158], v[82:83], -v[98:99]
	v_add_f64 v[96:97], v[96:97], -v[104:105]
	v_add_f64 v[98:99], v[98:99], -v[106:107]
	v_add_f64 v[84:85], v[116:117], v[84:85]
	v_add_f64 v[86:87], v[120:121], v[86:87]
	v_add_f64 v[112:113], v[112:113], -v[100:101]
	v_add_f64 v[114:115], v[114:115], -v[102:103]
	v_add_f64 v[92:93], v[135:136], v[92:93]
	v_add_f64 v[94:95], v[137:138], v[94:95]
	v_add_f64 v[118:119], v[100:101], -v[118:119]
	v_add_f64 v[122:123], v[102:103], -v[122:123]
	;; [unrolled: 1-line block ×3, first 2 shown]
	v_add_f64 v[135:136], v[100:101], v[68:69]
	v_add_f64 v[137:138], v[102:103], v[70:71]
	v_add_f64 v[82:83], v[106:107], -v[82:83]
	v_mul_f64 v[116:117], v[127:128], s[10:11]
	v_mul_f64 v[120:121], v[131:132], s[8:9]
	;; [unrolled: 1-line block ×8, first 2 shown]
	v_add_f64 v[104:105], v[151:152], v[104:105]
	v_add_f64 v[106:107], v[153:154], v[106:107]
	v_mul_f64 v[151:152], v[155:156], s[20:21]
	v_mul_f64 v[153:154], v[157:158], s[20:21]
	v_mul_f64 v[157:158], v[96:97], s[18:19]
	v_add_f64 v[68:69], v[72:73], v[84:85]
	v_add_f64 v[70:71], v[74:75], v[86:87]
	v_mul_f64 v[72:73], v[98:99], s[18:19]
	v_mul_f64 v[112:113], v[112:113], s[10:11]
	;; [unrolled: 1-line block ×4, first 2 shown]
	v_add_f64 v[100:101], v[76:77], v[135:136]
	v_add_f64 v[102:103], v[78:79], v[137:138]
	v_mul_f64 v[74:75], v[122:123], s[8:9]
	v_fma_f64 v[131:132], v[131:132], s[8:9], v[116:117]
	v_fma_f64 v[120:121], v[108:109], s[22:23], -v[120:121]
	v_fma_f64 v[108:109], v[108:109], s[24:25], -v[116:117]
	v_fma_f64 v[116:117], v[133:134], s[8:9], v[127:128]
	v_fma_f64 v[129:130], v[110:111], s[22:23], -v[129:130]
	v_fma_f64 v[110:111], v[110:111], s[24:25], -v[127:128]
	v_fma_f64 v[76:77], v[143:144], s[28:29], v[139:140]
	v_fma_f64 v[78:79], v[145:146], s[28:29], v[141:142]
	v_fma_f64 v[88:89], v[88:89], s[18:19], -v[139:140]
	v_fma_f64 v[90:91], v[90:91], s[18:19], -v[141:142]
	;; [unrolled: 1-line block ×4, first 2 shown]
	v_fma_f64 v[139:140], v[80:81], s[28:29], v[151:152]
	v_fma_f64 v[141:142], v[82:83], s[28:29], v[153:154]
	v_fma_f64 v[96:97], v[96:97], s[18:19], -v[151:152]
	v_fma_f64 v[98:99], v[98:99], s[18:19], -v[153:154]
	v_fma_f64 v[84:85], v[84:85], s[16:17], v[68:69]
	v_fma_f64 v[86:87], v[86:87], s[16:17], v[70:71]
	v_fma_f64 v[80:81], v[80:81], s[30:31], -v[157:158]
	v_fma_f64 v[82:83], v[82:83], s[30:31], -v[72:73]
	v_fma_f64 v[118:119], v[118:119], s[8:9], v[112:113]
	v_fma_f64 v[122:123], v[122:123], s[8:9], v[114:115]
	;; [unrolled: 1-line block ×4, first 2 shown]
	v_fma_f64 v[112:113], v[147:148], s[24:25], -v[112:113]
	v_fma_f64 v[114:115], v[149:150], s[24:25], -v[114:115]
	;; [unrolled: 1-line block ×4, first 2 shown]
	v_fma_f64 v[72:73], v[92:93], s[26:27], v[76:77]
	v_fma_f64 v[74:75], v[94:95], s[26:27], v[78:79]
	;; [unrolled: 1-line block ×10, first 2 shown]
	v_add_f64 v[92:93], v[120:121], v[84:85]
	v_add_f64 v[94:95], v[129:130], v[86:87]
	v_fma_f64 v[129:130], v[104:105], s[26:27], v[80:81]
	v_fma_f64 v[147:148], v[106:107], s[26:27], v[82:83]
	v_add_f64 v[82:83], v[108:109], v[84:85]
	v_add_f64 v[98:99], v[110:111], v[86:87]
	;; [unrolled: 1-line block ×10, first 2 shown]
	v_mov_b32_e32 v135, 0x9a
	v_mul_u32_u24_sdwa v125, v125, v135 dst_sel:DWORD dst_unused:UNUSED_PAD src0_sel:WORD_0 src1_sel:DWORD
	v_add_f64 v[116:117], v[92:93], -v[90:91]
	v_add_f64 v[118:119], v[88:89], v[94:95]
	v_add_f64 v[84:85], v[90:91], v[92:93]
	v_add_f64 v[86:87], v[94:95], -v[88:89]
	v_add_f64 v[88:89], v[82:83], -v[78:79]
	v_add_f64 v[90:91], v[76:77], v[98:99]
	v_add_f64 v[92:93], v[80:81], -v[74:75]
	v_add_f64 v[94:95], v[72:73], v[96:97]
	v_add_f64 v[104:105], v[139:140], v[131:132]
	v_add_f64 v[106:107], v[149:150], -v[133:134]
	v_add_f64 v[108:109], v[147:148], v[151:152]
	v_add_f64 v[110:111], v[153:154], -v[129:130]
	v_add_f64 v[112:113], v[120:121], -v[141:142]
	v_add_f64 v[114:115], v[127:128], v[122:123]
	v_add_f64 v[120:121], v[141:142], v[120:121]
	v_add_f64 v[122:123], v[122:123], -v[127:128]
	v_add_f64 v[127:128], v[151:152], -v[147:148]
	v_add_f64 v[129:130], v[129:130], v[153:154]
	v_add_f64 v[131:132], v[131:132], -v[139:140]
	v_add_f64 v[133:134], v[133:134], v[149:150]
	v_add_lshl_u32 v236, v125, v126, 4
	ds_write_b128 v236, v[100:103]
	ds_write_b128 v236, v[104:107] offset:352
	ds_write_b128 v236, v[108:111] offset:704
	;; [unrolled: 1-line block ×6, first 2 shown]
	s_and_saveexec_b32 s1, s0
	s_cbranch_execz .LBB0_11
; %bb.10:
	v_mov_b32_e32 v102, 0xba2f
	v_add_f64 v[100:101], v[98:99], -v[76:77]
	v_add_f64 v[76:77], v[96:97], -v[72:73]
	v_add_f64 v[74:75], v[74:75], v[80:81]
	v_add_f64 v[98:99], v[78:79], v[82:83]
	v_mul_u32_u24_sdwa v72, v124, v102 dst_sel:DWORD dst_unused:UNUSED_PAD src0_sel:WORD_0 src1_sel:DWORD
	v_mov_b32_e32 v73, 4
	v_lshrrev_b32_e32 v72, 20, v72
	v_mad_u16 v72, 0x9a, v72, v230
	v_lshlrev_b32_sdwa v72, v73, v72 dst_sel:DWORD dst_unused:UNUSED_PAD src0_sel:DWORD src1_sel:WORD_0
	ds_write_b128 v72, v[68:71]
	ds_write_b128 v72, v[74:77] offset:352
	ds_write_b128 v72, v[98:101] offset:704
	ds_write_b128 v72, v[116:119] offset:1056
	ds_write_b128 v72, v[84:87] offset:1408
	ds_write_b128 v72, v[88:91] offset:1760
	ds_write_b128 v72, v[92:95] offset:2112
.LBB0_11:
	s_or_b32 exec_lo, exec_lo, s1
	v_lshlrev_b32_e32 v68, 6, v226
	s_waitcnt lgkmcnt(0)
	s_barrier
	buffer_gl0_inv
	v_mul_i32_i24_e32 v176, 0xffffffd0, v226
	v_add_co_u32 v173, s1, s2, v68
	v_add_co_ci_u32_e64 v174, null, s3, 0, s1
	v_mul_hi_i32_i24_e32 v175, 0xffffffd0, v226
	v_add_co_u32 v68, s1, 0x800, v173
	v_add_co_ci_u32_e64 v69, s1, 0, v174, s1
	v_add_co_u32 v72, s1, 0x8f0, v173
	v_add_co_ci_u32_e64 v73, s1, 0, v174, s1
	v_add_co_u32 v201, s1, v173, v176
	s_clause 0x3
	global_load_dwordx4 v[68:71], v[68:69], off offset:240
	global_load_dwordx4 v[80:83], v[72:73], off offset:16
	;; [unrolled: 1-line block ×4, first 2 shown]
	ds_read_b128 v[96:99], v227 offset:4928
	ds_read_b128 v[100:103], v227 offset:9856
	;; [unrolled: 1-line block ×4, first 2 shown]
	ds_read_b128 v[112:115], v227
	ds_read_b128 v[120:123], v227 offset:2464
	ds_read_b128 v[124:127], v227 offset:7392
	;; [unrolled: 1-line block ×5, first 2 shown]
	v_add_co_ci_u32_e64 v202, s1, v174, v175, s1
	s_mov_b32 s10, 0x134454ff
	s_mov_b32 s11, 0x3fee6f0e
	;; [unrolled: 1-line block ×10, first 2 shown]
	s_waitcnt vmcnt(0) lgkmcnt(0)
	s_barrier
	buffer_gl0_inv
	v_mul_f64 v[140:141], v[98:99], v[70:71]
	v_mul_f64 v[144:145], v[102:103], v[82:83]
	;; [unrolled: 1-line block ×16, first 2 shown]
	v_fma_f64 v[96:97], v[96:97], v[68:69], -v[140:141]
	v_fma_f64 v[100:101], v[100:101], v[80:81], -v[144:145]
	v_fma_f64 v[102:103], v[102:103], v[80:81], v[146:147]
	v_fma_f64 v[104:105], v[104:105], v[76:77], -v[148:149]
	v_fma_f64 v[106:107], v[106:107], v[76:77], v[152:153]
	v_fma_f64 v[98:99], v[98:99], v[68:69], v[142:143]
	;; [unrolled: 1-line block ×3, first 2 shown]
	v_fma_f64 v[108:109], v[108:109], v[72:73], -v[154:155]
	v_fma_f64 v[128:129], v[128:129], v[80:81], -v[160:161]
	v_fma_f64 v[130:131], v[130:131], v[80:81], v[162:163]
	v_fma_f64 v[132:133], v[132:133], v[76:77], -v[165:166]
	v_fma_f64 v[134:135], v[134:135], v[76:77], v[167:168]
	v_fma_f64 v[124:125], v[124:125], v[68:69], -v[156:157]
	v_fma_f64 v[126:127], v[126:127], v[68:69], v[158:159]
	v_fma_f64 v[136:137], v[136:137], v[72:73], -v[169:170]
	v_fma_f64 v[138:139], v[138:139], v[72:73], v[171:172]
	v_add_f64 v[140:141], v[112:113], v[96:97]
	v_add_f64 v[148:149], v[96:97], -v[100:101]
	v_add_f64 v[154:155], v[100:101], -v[96:97]
	v_add_f64 v[142:143], v[100:101], v[104:105]
	v_add_f64 v[160:161], v[102:103], v[106:107]
	;; [unrolled: 1-line block ×5, first 2 shown]
	v_add_f64 v[150:151], v[108:109], -v[104:105]
	v_add_f64 v[144:145], v[98:99], -v[110:111]
	v_add_f64 v[173:174], v[128:129], v[132:133]
	v_add_f64 v[181:182], v[130:131], v[134:135]
	v_add_f64 v[156:157], v[104:105], -v[108:109]
	v_add_f64 v[165:166], v[98:99], -v[102:103]
	v_add_f64 v[177:178], v[124:125], v[136:137]
	v_add_f64 v[185:186], v[126:127], v[138:139]
	;; [unrolled: 4-line block ×3, first 2 shown]
	v_add_f64 v[96:97], v[96:97], -v[108:109]
	v_add_f64 v[167:168], v[110:111], -v[106:107]
	v_add_f64 v[146:147], v[102:103], -v[106:107]
	v_add_f64 v[162:163], v[100:101], -v[104:105]
	v_add_f64 v[179:180], v[126:127], -v[138:139]
	v_fma_f64 v[142:143], v[142:143], -0.5, v[112:113]
	v_fma_f64 v[160:161], v[160:161], -0.5, v[114:115]
	v_add_f64 v[187:188], v[124:125], -v[128:129]
	v_fma_f64 v[114:115], v[169:170], -0.5, v[114:115]
	v_fma_f64 v[112:113], v[152:153], -0.5, v[112:113]
	v_add_f64 v[191:192], v[128:129], -v[124:125]
	v_add_f64 v[124:125], v[124:125], -v[136:137]
	v_fma_f64 v[173:174], v[173:174], -0.5, v[120:121]
	v_add_f64 v[100:101], v[140:141], v[100:101]
	v_add_f64 v[140:141], v[148:149], v[150:151]
	v_fma_f64 v[148:149], v[181:182], -0.5, v[122:123]
	v_add_f64 v[183:184], v[130:131], -v[134:135]
	v_add_f64 v[189:190], v[136:137], -v[132:133]
	;; [unrolled: 1-line block ×3, first 2 shown]
	v_fma_f64 v[120:121], v[177:178], -0.5, v[120:121]
	v_fma_f64 v[122:123], v[185:186], -0.5, v[122:123]
	v_add_f64 v[102:103], v[158:159], v[102:103]
	v_add_f64 v[199:200], v[126:127], -v[130:131]
	v_add_f64 v[126:127], v[130:131], -v[126:127]
	v_add_f64 v[150:151], v[154:155], v[156:157]
	v_add_f64 v[156:157], v[98:99], v[171:172]
	;; [unrolled: 1-line block ×4, first 2 shown]
	v_add_f64 v[169:170], v[134:135], -v[138:139]
	v_add_f64 v[154:155], v[165:166], v[167:168]
	v_fma_f64 v[165:166], v[144:145], s[10:11], v[142:143]
	v_fma_f64 v[142:143], v[144:145], s[18:19], v[142:143]
	;; [unrolled: 1-line block ×8, first 2 shown]
	v_add_f64 v[152:153], v[138:139], -v[134:135]
	v_fma_f64 v[177:178], v[179:180], s[10:11], v[173:174]
	v_fma_f64 v[173:174], v[179:180], s[18:19], v[173:174]
	;; [unrolled: 1-line block ×3, first 2 shown]
	v_add_f64 v[193:194], v[132:133], -v[136:137]
	v_add_f64 v[128:129], v[187:188], v[189:190]
	v_fma_f64 v[181:182], v[183:184], s[18:19], v[120:121]
	v_fma_f64 v[187:188], v[197:198], s[10:11], v[122:123]
	;; [unrolled: 1-line block ×5, first 2 shown]
	v_add_f64 v[100:101], v[100:101], v[104:105]
	v_add_f64 v[102:103], v[102:103], v[106:107]
	v_add_f64 v[104:105], v[98:99], v[132:133]
	v_add_f64 v[106:107], v[130:131], v[134:135]
	v_add_f64 v[169:170], v[126:127], v[169:170]
	v_fma_f64 v[126:127], v[146:147], s[8:9], v[165:166]
	v_fma_f64 v[130:131], v[146:147], s[16:17], v[142:143]
	;; [unrolled: 1-line block ×8, first 2 shown]
	v_add_f64 v[152:153], v[199:200], v[152:153]
	v_fma_f64 v[162:163], v[183:184], s[8:9], v[177:178]
	v_fma_f64 v[165:166], v[183:184], s[16:17], v[173:174]
	;; [unrolled: 1-line block ×3, first 2 shown]
	v_add_f64 v[158:159], v[191:192], v[193:194]
	v_fma_f64 v[167:168], v[179:180], s[8:9], v[181:182]
	v_fma_f64 v[175:176], v[124:125], s[16:17], v[187:188]
	;; [unrolled: 1-line block ×5, first 2 shown]
	v_add_f64 v[96:97], v[100:101], v[108:109]
	v_add_f64 v[98:99], v[102:103], v[110:111]
	;; [unrolled: 1-line block ×4, first 2 shown]
	v_fma_f64 v[104:105], v[140:141], s[2:3], v[126:127]
	v_fma_f64 v[108:109], v[140:141], s[2:3], v[130:131]
	;; [unrolled: 1-line block ×8, first 2 shown]
	v_add_co_u32 v179, s1, 0x2800, v201
	v_fma_f64 v[124:125], v[128:129], s[2:3], v[162:163]
	v_fma_f64 v[126:127], v[152:153], s[2:3], v[173:174]
	v_fma_f64 v[128:129], v[128:129], s[2:3], v[165:166]
	v_fma_f64 v[132:133], v[158:159], s[2:3], v[167:168]
	v_fma_f64 v[134:135], v[169:170], s[2:3], v[175:176]
	v_fma_f64 v[136:137], v[158:159], s[2:3], v[171:172]
	v_fma_f64 v[138:139], v[169:170], s[2:3], v[177:178]
	v_fma_f64 v[130:131], v[152:153], s[2:3], v[148:149]
	v_add_co_ci_u32_e64 v180, s1, 0, v202, s1
	v_add_co_u32 v140, s1, 0x3800, v201
	v_add_co_ci_u32_e64 v141, s1, 0, v202, s1
	v_add_co_u32 v142, s1, 0x4000, v201
	;; [unrolled: 2-line block ×3, first 2 shown]
	v_add_co_ci_u32_e64 v145, s1, 0, v202, s1
	ds_write_b128 v227, v[96:99]
	ds_write_b128 v227, v[100:103] offset:12320
	ds_write_b128 v227, v[104:107] offset:2464
	;; [unrolled: 1-line block ×9, first 2 shown]
	v_add_co_u32 v112, s1, 0x5000, v201
	v_add_co_ci_u32_e64 v113, s1, 0, v202, s1
	s_waitcnt lgkmcnt(0)
	s_barrier
	buffer_gl0_inv
	s_clause 0x4
	global_load_dwordx4 v[100:103], v[179:180], off offset:1904
	global_load_dwordx4 v[96:99], v[140:141], off offset:272
	;; [unrolled: 1-line block ×5, first 2 shown]
	ds_read_b128 v[120:123], v227 offset:12320
	ds_read_b128 v[124:127], v227 offset:14784
	;; [unrolled: 1-line block ×6, first 2 shown]
	ds_read_b128 v[148:151], v227
	ds_read_b128 v[156:159], v227 offset:2464
	ds_read_b128 v[165:168], v227 offset:4928
	;; [unrolled: 1-line block ×3, first 2 shown]
	s_waitcnt vmcnt(4) lgkmcnt(9)
	v_mul_f64 v[144:145], v[122:123], v[102:103]
	v_mul_f64 v[146:147], v[120:121], v[102:103]
	s_waitcnt vmcnt(3) lgkmcnt(8)
	v_mul_f64 v[152:153], v[126:127], v[98:99]
	v_mul_f64 v[154:155], v[124:125], v[98:99]
	;; [unrolled: 3-line block ×5, first 2 shown]
	v_fma_f64 v[120:121], v[120:121], v[100:101], -v[144:145]
	v_fma_f64 v[122:123], v[122:123], v[100:101], v[146:147]
	v_fma_f64 v[124:125], v[124:125], v[96:97], -v[152:153]
	v_fma_f64 v[126:127], v[126:127], v[96:97], v[154:155]
	;; [unrolled: 2-line block ×5, first 2 shown]
	s_waitcnt lgkmcnt(3)
	v_add_f64 v[152:153], v[148:149], -v[120:121]
	v_add_f64 v[154:155], v[150:151], -v[122:123]
	s_waitcnt lgkmcnt(2)
	v_add_f64 v[144:145], v[156:157], -v[124:125]
	v_add_f64 v[146:147], v[158:159], -v[126:127]
	;; [unrolled: 3-line block ×4, first 2 shown]
	v_add_f64 v[128:129], v[140:141], -v[160:161]
	v_add_f64 v[130:131], v[142:143], -v[162:163]
	v_fma_f64 v[120:121], v[148:149], 2.0, -v[152:153]
	v_fma_f64 v[122:123], v[150:151], 2.0, -v[154:155]
	;; [unrolled: 1-line block ×10, first 2 shown]
	ds_write_b128 v227, v[152:155] offset:12320
	ds_write_b128 v227, v[144:147] offset:14784
	;; [unrolled: 1-line block ×5, first 2 shown]
	ds_write_b128 v227, v[120:123]
	ds_write_b128 v227, v[160:163] offset:2464
	ds_write_b128 v227, v[156:159] offset:4928
	;; [unrolled: 1-line block ×4, first 2 shown]
	s_waitcnt lgkmcnt(0)
	s_barrier
	buffer_gl0_inv
	s_and_saveexec_b32 s2, vcc_lo
	s_cbranch_execz .LBB0_13
; %bb.12:
	v_add_co_u32 v199, s1, s14, v225
	v_add_co_ci_u32_e64 v200, null, s15, 0, s1
	v_add_co_u32 v124, s1, 0x6000, v199
	v_add_co_ci_u32_e64 v125, s1, 0, v200, s1
	v_add_co_u32 v165, s1, 0x6800, v199
	v_add_co_ci_u32_e64 v166, s1, 0, v200, s1
	global_load_dwordx4 v[124:127], v[124:125], off offset:64
	v_add_co_u32 v169, s1, 0x7000, v199
	global_load_dwordx4 v[165:168], v[165:166], off offset:256
	v_add_co_ci_u32_e64 v170, s1, 0, v200, s1
	v_add_co_u32 v173, s1, 0x7800, v199
	v_add_co_ci_u32_e64 v174, s1, 0, v200, s1
	global_load_dwordx4 v[169:172], v[169:170], off offset:448
	v_add_co_u32 v177, s1, 0x8000, v199
	global_load_dwordx4 v[173:176], v[173:174], off offset:640
	v_add_co_ci_u32_e64 v178, s1, 0, v200, s1
	v_add_co_u32 v181, s1, 0x8800, v199
	v_add_co_ci_u32_e64 v182, s1, 0, v200, s1
	global_load_dwordx4 v[177:180], v[177:178], off offset:832
	v_add_co_u32 v185, s1, 0x9000, v199
	global_load_dwordx4 v[181:184], v[181:182], off offset:1024
	v_add_co_ci_u32_e64 v186, s1, 0, v200, s1
	v_add_co_u32 v189, s1, 0x9800, v199
	v_add_co_ci_u32_e64 v190, s1, 0, v200, s1
	global_load_dwordx4 v[185:188], v[185:186], off offset:1216
	v_add_co_u32 v193, s1, 0xa000, v199
	global_load_dwordx4 v[189:192], v[189:190], off offset:1408
	v_add_co_ci_u32_e64 v194, s1, 0, v200, s1
	v_add_co_u32 v197, s1, 0xa800, v199
	v_add_co_ci_u32_e64 v198, s1, 0, v200, s1
	global_load_dwordx4 v[193:196], v[193:194], off offset:1600
	v_add_co_u32 v201, s1, 0xb000, v199
	v_add_co_ci_u32_e64 v202, s1, 0, v200, s1
	s_clause 0x1
	global_load_dwordx4 v[197:200], v[197:198], off offset:1792
	global_load_dwordx4 v[201:204], v[201:202], off offset:1984
	ds_read_b128 v[205:208], v227
	s_waitcnt vmcnt(10) lgkmcnt(0)
	v_mul_f64 v[209:210], v[207:208], v[126:127]
	v_mul_f64 v[126:127], v[205:206], v[126:127]
	v_fma_f64 v[205:206], v[205:206], v[124:125], -v[209:210]
	v_fma_f64 v[207:208], v[207:208], v[124:125], v[126:127]
	ds_write_b128 v227, v[205:208]
	ds_read_b128 v[124:127], v225 offset:2240
	ds_read_b128 v[205:208], v225 offset:4480
	s_waitcnt vmcnt(9) lgkmcnt(1)
	v_mul_f64 v[209:210], v[126:127], v[167:168]
	v_mul_f64 v[167:168], v[124:125], v[167:168]
	s_waitcnt vmcnt(8) lgkmcnt(0)
	v_mul_f64 v[213:214], v[207:208], v[171:172]
	v_mul_f64 v[171:172], v[205:206], v[171:172]
	v_fma_f64 v[124:125], v[124:125], v[165:166], -v[209:210]
	v_fma_f64 v[126:127], v[126:127], v[165:166], v[167:168]
	ds_read_b128 v[165:168], v225 offset:6720
	ds_read_b128 v[209:212], v225 offset:8960
	v_fma_f64 v[205:206], v[205:206], v[169:170], -v[213:214]
	v_fma_f64 v[207:208], v[207:208], v[169:170], v[171:172]
	s_waitcnt vmcnt(7) lgkmcnt(1)
	v_mul_f64 v[169:170], v[167:168], v[175:176]
	v_mul_f64 v[171:172], v[165:166], v[175:176]
	s_waitcnt vmcnt(6) lgkmcnt(0)
	v_mul_f64 v[213:214], v[211:212], v[179:180]
	v_mul_f64 v[179:180], v[209:210], v[179:180]
	v_fma_f64 v[165:166], v[165:166], v[173:174], -v[169:170]
	v_fma_f64 v[167:168], v[167:168], v[173:174], v[171:172]
	ds_read_b128 v[169:172], v225 offset:11200
	ds_read_b128 v[173:176], v225 offset:13440
	v_fma_f64 v[209:210], v[209:210], v[177:178], -v[213:214]
	v_fma_f64 v[211:212], v[211:212], v[177:178], v[179:180]
	;; [unrolled: 12-line block ×4, first 2 shown]
	s_waitcnt vmcnt(1) lgkmcnt(1)
	v_mul_f64 v[193:194], v[187:188], v[199:200]
	v_mul_f64 v[195:196], v[185:186], v[199:200]
	s_waitcnt vmcnt(0) lgkmcnt(0)
	v_mul_f64 v[199:200], v[191:192], v[203:204]
	v_mul_f64 v[203:204], v[189:190], v[203:204]
	v_fma_f64 v[185:186], v[185:186], v[197:198], -v[193:194]
	v_fma_f64 v[187:188], v[187:188], v[197:198], v[195:196]
	v_fma_f64 v[189:190], v[189:190], v[201:202], -v[199:200]
	v_fma_f64 v[191:192], v[191:192], v[201:202], v[203:204]
	ds_write_b128 v225, v[124:127] offset:2240
	ds_write_b128 v225, v[205:208] offset:4480
	ds_write_b128 v225, v[165:168] offset:6720
	ds_write_b128 v225, v[209:212] offset:8960
	ds_write_b128 v225, v[169:172] offset:11200
	ds_write_b128 v225, v[173:176] offset:13440
	ds_write_b128 v225, v[177:180] offset:15680
	ds_write_b128 v225, v[181:184] offset:17920
	ds_write_b128 v225, v[185:188] offset:20160
	ds_write_b128 v225, v[189:192] offset:22400
.LBB0_13:
	s_or_b32 exec_lo, exec_lo, s2
	s_waitcnt lgkmcnt(0)
	s_barrier
	buffer_gl0_inv
	s_and_saveexec_b32 s1, vcc_lo
	s_cbranch_execz .LBB0_15
; %bb.14:
	ds_read_b128 v[120:123], v227
	ds_read_b128 v[152:155], v227 offset:2240
	ds_read_b128 v[160:163], v227 offset:4480
	;; [unrolled: 1-line block ×10, first 2 shown]
.LBB0_15:
	s_or_b32 exec_lo, exec_lo, s1
	s_waitcnt lgkmcnt(0)
	v_add_f64 v[205:206], v[154:155], -v[118:119]
	v_add_f64 v[209:210], v[154:155], v[118:119]
	s_mov_b32 s2, 0x8764f0ba
	s_mov_b32 s16, 0xf8bb580b
	;; [unrolled: 1-line block ×4, first 2 shown]
	v_add_f64 v[201:202], v[152:153], v[116:117]
	v_add_f64 v[211:212], v[152:153], -v[116:117]
	v_add_f64 v[175:176], v[162:163], -v[130:131]
	v_add_f64 v[165:166], v[162:163], v[130:131]
	s_mov_b32 s8, 0xd9c712b6
	s_mov_b32 s26, 0x8eee2c13
	;; [unrolled: 1-line block ×4, first 2 shown]
	v_add_f64 v[167:168], v[160:161], v[128:129]
	v_add_f64 v[179:180], v[160:161], -v[128:129]
	v_add_f64 v[185:186], v[146:147], -v[142:143]
	v_add_f64 v[169:170], v[146:147], v[142:143]
	s_mov_b32 s10, 0x640f44db
	s_mov_b32 s24, 0x43842ef
	;; [unrolled: 1-line block ×4, first 2 shown]
	v_mul_f64 v[221:222], v[205:206], s[16:17]
	v_mul_f64 v[223:224], v[209:210], s[2:3]
	v_add_f64 v[171:172], v[144:145], v[140:141]
	v_add_f64 v[187:188], v[144:145], -v[140:141]
	v_add_f64 v[173:174], v[158:159], v[134:135]
	v_add_f64 v[189:190], v[158:159], -v[134:135]
	s_mov_b32 s18, 0x7f775887
	s_mov_b32 s22, 0xbb3a28a1
	v_mul_f64 v[197:198], v[175:176], s[26:27]
	v_mul_f64 v[199:200], v[165:166], s[8:9]
	s_mov_b32 s19, 0xbfe4f49e
	s_mov_b32 s23, 0xbfe82f19
	v_add_f64 v[177:178], v[156:157], v[132:133]
	v_add_f64 v[193:194], v[156:157], -v[132:133]
	v_add_f64 v[181:182], v[138:139], v[150:151]
	v_add_f64 v[191:192], v[138:139], -v[150:151]
	v_mul_f64 v[203:204], v[185:186], s[24:25]
	v_mul_f64 v[207:208], v[169:170], s[10:11]
	s_mov_b32 s20, 0x9bcd5057
	s_mov_b32 s29, 0xbfd207e7
	s_mov_b32 s28, 0xfd768dbf
	s_mov_b32 s21, 0xbfeeb42a
	v_fma_f64 v[124:125], v[201:202], s[2:3], -v[221:222]
	v_fma_f64 v[126:127], v[211:212], s[16:17], v[223:224]
	s_barrier
	v_mul_f64 v[215:216], v[173:174], s[18:19]
	v_mul_f64 v[213:214], v[189:190], s[22:23]
	buffer_gl0_inv
	v_fma_f64 v[183:184], v[167:168], s[8:9], -v[197:198]
	v_fma_f64 v[195:196], v[179:180], s[26:27], v[199:200]
	v_mul_f64 v[219:220], v[181:182], s[20:21]
	v_mul_f64 v[217:218], v[191:192], s[28:29]
	v_fma_f64 v[237:238], v[171:172], s[10:11], -v[203:204]
	v_fma_f64 v[239:240], v[187:188], s[24:25], v[207:208]
	v_add_f64 v[124:125], v[120:121], v[124:125]
	v_add_f64 v[126:127], v[122:123], v[126:127]
	v_fma_f64 v[243:244], v[193:194], s[22:23], v[215:216]
	v_fma_f64 v[241:242], v[177:178], s[18:19], -v[213:214]
	v_add_f64 v[124:125], v[183:184], v[124:125]
	v_add_f64 v[126:127], v[195:196], v[126:127]
	;; [unrolled: 1-line block ×3, first 2 shown]
	v_add_f64 v[195:196], v[136:137], -v[148:149]
	v_add_f64 v[124:125], v[237:238], v[124:125]
	v_add_f64 v[126:127], v[239:240], v[126:127]
	v_fma_f64 v[237:238], v[183:184], s[20:21], -v[217:218]
	v_fma_f64 v[239:240], v[195:196], s[28:29], v[219:220]
	v_add_f64 v[124:125], v[241:242], v[124:125]
	v_add_f64 v[126:127], v[243:244], v[126:127]
	;; [unrolled: 1-line block ×4, first 2 shown]
	s_and_saveexec_b32 s1, vcc_lo
	s_cbranch_execz .LBB0_17
; %bb.16:
	v_add_f64 v[152:153], v[120:121], v[152:153]
	v_add_f64 v[154:155], v[122:123], v[154:155]
	s_mov_b32 s35, 0x3fe14ced
	s_mov_b32 s34, s16
	;; [unrolled: 1-line block ×4, first 2 shown]
	v_mul_f64 v[237:238], v[191:192], s[24:25]
	v_mul_f64 v[239:240], v[191:192], s[22:23]
	v_add_f64 v[152:153], v[152:153], v[160:161]
	v_add_f64 v[154:155], v[154:155], v[162:163]
	;; [unrolled: 1-line block ×4, first 2 shown]
	v_mul_f64 v[152:153], v[205:206], s[24:25]
	v_mul_f64 v[154:155], v[205:206], s[26:27]
	v_add_f64 v[144:145], v[144:145], v[156:157]
	v_add_f64 v[146:147], v[146:147], v[158:159]
	v_fma_f64 v[160:161], v[201:202], s[10:11], v[152:153]
	v_fma_f64 v[152:153], v[201:202], s[10:11], -v[152:153]
	v_fma_f64 v[162:163], v[201:202], s[8:9], v[154:155]
	v_fma_f64 v[154:155], v[201:202], s[8:9], -v[154:155]
	v_add_f64 v[136:137], v[144:145], v[136:137]
	v_add_f64 v[138:139], v[146:147], v[138:139]
	;; [unrolled: 1-line block ×7, first 2 shown]
	v_mul_f64 v[148:149], v[205:206], s[28:29]
	v_mul_f64 v[150:151], v[205:206], s[22:23]
	v_add_f64 v[132:133], v[136:137], v[132:133]
	v_add_f64 v[134:135], v[138:139], v[134:135]
	v_mul_f64 v[136:137], v[211:212], s[24:25]
	v_mul_f64 v[138:139], v[211:212], s[26:27]
	v_fma_f64 v[156:157], v[201:202], s[20:21], -v[148:149]
	v_fma_f64 v[148:149], v[201:202], s[20:21], v[148:149]
	v_fma_f64 v[158:159], v[201:202], s[18:19], -v[150:151]
	v_fma_f64 v[150:151], v[201:202], s[18:19], v[150:151]
	v_add_f64 v[132:133], v[132:133], v[140:141]
	v_add_f64 v[134:135], v[134:135], v[142:143]
	v_fma_f64 v[144:145], v[209:210], s[10:11], v[136:137]
	v_fma_f64 v[136:137], v[209:210], s[10:11], -v[136:137]
	v_fma_f64 v[146:147], v[209:210], s[8:9], -v[138:139]
	v_fma_f64 v[138:139], v[209:210], s[8:9], v[138:139]
	v_add_f64 v[156:157], v[120:121], v[156:157]
	v_add_f64 v[148:149], v[120:121], v[148:149]
	;; [unrolled: 1-line block ×6, first 2 shown]
	v_mul_f64 v[134:135], v[211:212], s[22:23]
	v_mul_f64 v[132:133], v[211:212], s[28:29]
	v_add_f64 v[116:117], v[128:129], v[116:117]
	v_mul_f64 v[128:129], v[211:212], s[16:17]
	v_add_f64 v[118:119], v[130:131], v[118:119]
	v_mul_f64 v[130:131], v[201:202], s[2:3]
	v_fma_f64 v[142:143], v[209:210], s[18:19], v[134:135]
	v_fma_f64 v[134:135], v[209:210], s[18:19], -v[134:135]
	v_fma_f64 v[140:141], v[209:210], s[20:21], v[132:133]
	v_fma_f64 v[132:133], v[209:210], s[20:21], -v[132:133]
	v_add_f64 v[209:210], v[122:123], v[144:145]
	v_add_f64 v[128:129], v[223:224], -v[128:129]
	v_mul_f64 v[223:224], v[195:196], s[24:25]
	v_add_f64 v[130:131], v[130:131], v[221:222]
	v_add_f64 v[201:202], v[122:123], v[142:143]
	;; [unrolled: 1-line block ×8, first 2 shown]
	v_mul_f64 v[138:139], v[187:188], s[22:23]
	v_add_f64 v[132:133], v[122:123], v[132:133]
	v_add_f64 v[134:135], v[122:123], v[128:129]
	v_mul_f64 v[128:129], v[179:180], s[34:35]
	v_add_f64 v[144:145], v[120:121], v[130:131]
	v_mul_f64 v[130:131], v[175:176], s[34:35]
	v_fma_f64 v[120:121], v[165:166], s[2:3], v[128:129]
	v_fma_f64 v[128:129], v[165:166], s[2:3], -v[128:129]
	v_fma_f64 v[122:123], v[167:168], s[2:3], -v[130:131]
	v_fma_f64 v[130:131], v[167:168], s[2:3], v[130:131]
	v_add_f64 v[120:121], v[120:121], v[140:141]
	v_fma_f64 v[140:141], v[169:170], s[18:19], v[138:139]
	v_add_f64 v[122:123], v[122:123], v[156:157]
	v_add_f64 v[128:129], v[128:129], v[132:133]
	v_fma_f64 v[132:133], v[169:170], s[18:19], -v[138:139]
	v_add_f64 v[130:131], v[130:131], v[148:149]
	v_fma_f64 v[138:139], v[183:184], s[10:11], v[237:238]
	v_mul_f64 v[148:149], v[171:172], s[10:11]
	v_add_f64 v[120:121], v[140:141], v[120:121]
	v_mul_f64 v[140:141], v[185:186], s[22:23]
	v_add_f64 v[128:129], v[132:133], v[128:129]
	v_add_f64 v[148:149], v[148:149], v[203:204]
	v_fma_f64 v[156:157], v[171:172], s[18:19], -v[140:141]
	v_fma_f64 v[132:133], v[171:172], s[18:19], v[140:141]
	v_mul_f64 v[140:141], v[187:188], s[24:25]
	s_mov_b32 s25, 0x3fefac9e
	v_add_f64 v[122:123], v[156:157], v[122:123]
	v_mul_f64 v[156:157], v[193:194], s[30:31]
	v_add_f64 v[130:131], v[132:133], v[130:131]
	v_add_f64 v[140:141], v[207:208], -v[140:141]
	v_fma_f64 v[211:212], v[173:174], s[8:9], v[156:157]
	v_fma_f64 v[132:133], v[173:174], s[8:9], -v[156:157]
	v_mul_f64 v[156:157], v[193:194], s[22:23]
	v_add_f64 v[120:121], v[211:212], v[120:121]
	v_mul_f64 v[211:212], v[189:190], s[30:31]
	v_add_f64 v[128:129], v[132:133], v[128:129]
	v_add_f64 v[156:157], v[215:216], -v[156:157]
	v_mul_f64 v[215:216], v[195:196], s[34:35]
	v_fma_f64 v[132:133], v[177:178], s[8:9], v[211:212]
	v_fma_f64 v[221:222], v[177:178], s[8:9], -v[211:212]
	v_mul_f64 v[211:212], v[193:194], s[24:25]
	v_add_f64 v[132:133], v[132:133], v[130:131]
	v_fma_f64 v[130:131], v[181:182], s[10:11], -v[223:224]
	v_add_f64 v[221:222], v[221:222], v[122:123]
	v_fma_f64 v[122:123], v[181:182], s[10:11], v[223:224]
	v_mul_f64 v[223:224], v[185:186], s[30:31]
	v_add_f64 v[130:131], v[130:131], v[128:129]
	v_add_f64 v[128:129], v[138:139], v[132:133]
	v_mul_f64 v[132:133], v[179:180], s[26:27]
	v_mul_f64 v[138:139], v[167:168], s[8:9]
	v_add_f64 v[122:123], v[122:123], v[120:121]
	v_fma_f64 v[120:121], v[183:184], s[10:11], -v[237:238]
	v_mul_f64 v[237:238], v[195:196], s[22:23]
	v_add_f64 v[132:133], v[199:200], -v[132:133]
	v_add_f64 v[138:139], v[138:139], v[197:198]
	v_mul_f64 v[197:198], v[177:178], s[18:19]
	v_mul_f64 v[199:200], v[189:190], s[28:29]
	v_add_f64 v[120:121], v[120:121], v[221:222]
	v_add_f64 v[132:133], v[132:133], v[134:135]
	;; [unrolled: 1-line block ×3, first 2 shown]
	v_mul_f64 v[138:139], v[195:196], s[28:29]
	v_add_f64 v[197:198], v[197:198], v[213:214]
	v_mul_f64 v[213:214], v[189:190], s[24:25]
	v_mul_f64 v[189:190], v[189:190], s[16:17]
	;; [unrolled: 1-line block ×3, first 2 shown]
	v_add_f64 v[132:133], v[140:141], v[132:133]
	v_add_f64 v[134:135], v[148:149], v[134:135]
	v_add_f64 v[138:139], v[219:220], -v[138:139]
	v_mul_f64 v[140:141], v[183:184], s[20:21]
	v_mul_f64 v[148:149], v[179:180], s[22:23]
	v_add_f64 v[132:133], v[156:157], v[132:133]
	v_add_f64 v[144:145], v[197:198], v[134:135]
	v_mul_f64 v[197:198], v[193:194], s[28:29]
	s_mov_b32 s29, 0x3fd207e7
	v_add_f64 v[140:141], v[140:141], v[217:218]
	v_mul_f64 v[156:157], v[175:176], s[22:23]
	v_mul_f64 v[203:204], v[187:188], s[28:29]
	;; [unrolled: 1-line block ×11, first 2 shown]
	v_add_f64 v[134:135], v[138:139], v[132:133]
	v_fma_f64 v[138:139], v[165:166], s[18:19], -v[148:149]
	v_fma_f64 v[148:149], v[165:166], s[18:19], v[148:149]
	v_add_f64 v[132:133], v[140:141], v[144:145]
	v_fma_f64 v[140:141], v[169:170], s[20:21], -v[203:204]
	v_add_f64 v[136:137], v[138:139], v[136:137]
	v_fma_f64 v[138:139], v[167:168], s[18:19], v[156:157]
	v_fma_f64 v[156:157], v[167:168], s[18:19], -v[156:157]
	v_add_f64 v[148:149], v[148:149], v[162:163]
	v_fma_f64 v[162:163], v[171:172], s[2:3], -v[185:186]
	v_add_f64 v[136:137], v[140:141], v[136:137]
	v_add_f64 v[138:139], v[138:139], v[146:147]
	v_fma_f64 v[140:141], v[171:172], s[20:21], v[207:208]
	v_fma_f64 v[146:147], v[167:168], s[10:11], v[175:176]
	v_fma_f64 v[175:176], v[167:168], s[10:11], -v[175:176]
	v_add_f64 v[154:155], v[156:157], v[154:155]
	v_add_f64 v[138:139], v[140:141], v[138:139]
	v_fma_f64 v[140:141], v[173:174], s[10:11], -v[211:212]
	v_add_f64 v[146:147], v[146:147], v[150:151]
	v_mul_f64 v[150:151], v[187:188], s[16:17]
	v_add_f64 v[158:159], v[175:176], v[158:159]
	v_fma_f64 v[175:176], v[165:166], s[20:21], v[219:220]
	v_add_f64 v[136:137], v[140:141], v[136:137]
	v_fma_f64 v[140:141], v[177:178], s[10:11], v[213:214]
	;; [unrolled: 2-line block ×3, first 2 shown]
	v_add_f64 v[140:141], v[140:141], v[138:139]
	v_fma_f64 v[138:139], v[181:182], s[2:3], -v[215:216]
	v_add_f64 v[138:139], v[138:139], v[136:137]
	v_fma_f64 v[136:137], v[183:184], s[2:3], v[217:218]
	v_add_f64 v[136:137], v[136:137], v[140:141]
	v_fma_f64 v[140:141], v[165:166], s[20:21], -v[219:220]
	v_add_f64 v[140:141], v[140:141], v[142:143]
	v_fma_f64 v[142:143], v[167:168], s[20:21], v[221:222]
	v_add_f64 v[142:143], v[142:143], v[160:161]
	v_mul_f64 v[160:161], v[187:188], s[30:31]
	v_fma_f64 v[187:188], v[169:170], s[2:3], -v[150:151]
	v_fma_f64 v[150:151], v[169:170], s[2:3], v[150:151]
	v_fma_f64 v[144:145], v[169:170], s[8:9], -v[160:161]
	v_fma_f64 v[160:161], v[169:170], s[8:9], v[160:161]
	v_add_f64 v[140:141], v[144:145], v[140:141]
	v_fma_f64 v[144:145], v[171:172], s[8:9], v[223:224]
	v_add_f64 v[142:143], v[144:145], v[142:143]
	v_fma_f64 v[144:145], v[173:174], s[2:3], -v[193:194]
	v_add_f64 v[140:141], v[144:145], v[140:141]
	v_fma_f64 v[144:145], v[177:178], s[2:3], v[189:190]
	v_add_f64 v[144:145], v[144:145], v[142:143]
	v_fma_f64 v[142:143], v[181:182], s[18:19], -v[237:238]
	;; [unrolled: 4-line block ×3, first 2 shown]
	v_fma_f64 v[179:180], v[165:166], s[10:11], v[179:180]
	v_fma_f64 v[165:166], v[167:168], s[20:21], -v[221:222]
	v_add_f64 v[167:168], v[175:176], v[209:210]
	v_add_f64 v[144:145], v[144:145], v[205:206]
	;; [unrolled: 1-line block ×4, first 2 shown]
	v_fma_f64 v[165:166], v[169:170], s[20:21], v[203:204]
	v_fma_f64 v[169:170], v[171:172], s[8:9], -v[223:224]
	v_add_f64 v[158:159], v[160:161], v[167:168]
	v_fma_f64 v[160:161], v[173:174], s[20:21], v[197:198]
	v_fma_f64 v[167:168], v[173:174], s[10:11], v[211:212]
	v_add_f64 v[144:145], v[187:188], v[144:145]
	v_fma_f64 v[187:188], v[171:172], s[2:3], v[185:186]
	v_fma_f64 v[171:172], v[171:172], s[20:21], -v[207:208]
	v_add_f64 v[150:151], v[150:151], v[179:180]
	v_add_f64 v[148:149], v[165:166], v[148:149]
	v_fma_f64 v[165:166], v[177:178], s[20:21], -v[199:200]
	v_add_f64 v[152:153], v[169:170], v[152:153]
	v_fma_f64 v[169:170], v[177:178], s[2:3], -v[189:190]
	v_add_f64 v[158:159], v[162:163], v[158:159]
	v_fma_f64 v[162:163], v[181:182], s[18:19], v[237:238]
	v_add_f64 v[146:147], v[187:188], v[146:147]
	v_fma_f64 v[187:188], v[173:174], s[20:21], -v[197:198]
	v_fma_f64 v[173:174], v[177:178], s[10:11], -v[213:214]
	v_add_f64 v[154:155], v[171:172], v[154:155]
	v_add_f64 v[150:151], v[160:161], v[150:151]
	v_add_f64 v[156:157], v[165:166], v[156:157]
	v_fma_f64 v[160:161], v[181:182], s[8:9], v[195:196]
	v_add_f64 v[167:168], v[167:168], v[148:149]
	v_fma_f64 v[148:149], v[183:184], s[8:9], -v[191:192]
	v_add_f64 v[152:153], v[169:170], v[152:153]
	v_fma_f64 v[169:170], v[183:184], s[18:19], -v[239:240]
	v_fma_f64 v[165:166], v[181:182], s[2:3], v[215:216]
	v_fma_f64 v[171:172], v[183:184], s[2:3], -v[217:218]
	v_add_f64 v[144:145], v[187:188], v[144:145]
	v_fma_f64 v[187:188], v[177:178], s[20:21], v[199:200]
	v_add_f64 v[173:174], v[173:174], v[154:155]
	v_add_f64 v[154:155], v[162:163], v[158:159]
	;; [unrolled: 1-line block ×3, first 2 shown]
	v_mov_b32_e32 v160, 4
	v_add_f64 v[148:149], v[148:149], v[156:157]
	v_add_f64 v[152:153], v[169:170], v[152:153]
	;; [unrolled: 1-line block ×3, first 2 shown]
	v_lshlrev_b32_sdwa v160, v160, v228 dst_sel:DWORD dst_unused:UNUSED_PAD src0_sel:DWORD src1_sel:WORD_0
	v_add_f64 v[187:188], v[187:188], v[146:147]
	v_fma_f64 v[146:147], v[181:182], s[8:9], -v[195:196]
	v_add_f64 v[156:157], v[171:172], v[173:174]
	v_add_f64 v[146:147], v[146:147], v[144:145]
	v_fma_f64 v[144:145], v[183:184], s[8:9], v[191:192]
	v_add_f64 v[144:145], v[144:145], v[187:188]
	ds_write_b128 v160, v[116:119]
	ds_write_b128 v160, v[132:135] offset:16
	ds_write_b128 v160, v[136:139] offset:32
	;; [unrolled: 1-line block ×10, first 2 shown]
.LBB0_17:
	s_or_b32 exec_lo, exec_lo, s1
	s_waitcnt lgkmcnt(0)
	s_barrier
	buffer_gl0_inv
	ds_read_b128 v[116:119], v227 offset:12320
	ds_read_b128 v[120:123], v227 offset:14784
	;; [unrolled: 1-line block ×6, first 2 shown]
	ds_read_b128 v[144:147], v227
	ds_read_b128 v[148:151], v227 offset:2464
	ds_read_b128 v[152:155], v227 offset:4928
	;; [unrolled: 1-line block ×3, first 2 shown]
	s_waitcnt lgkmcnt(0)
	s_barrier
	buffer_gl0_inv
	v_mul_f64 v[160:161], v[34:35], v[118:119]
	v_mul_f64 v[34:35], v[34:35], v[116:117]
	;; [unrolled: 1-line block ×10, first 2 shown]
	v_fma_f64 v[116:117], v[32:33], v[116:117], v[160:161]
	v_fma_f64 v[32:33], v[32:33], v[118:119], -v[34:35]
	v_fma_f64 v[34:35], v[36:37], v[120:121], v[162:163]
	v_fma_f64 v[118:119], v[36:37], v[122:123], -v[38:39]
	;; [unrolled: 2-line block ×5, first 2 shown]
	v_add_f64 v[36:37], v[144:145], -v[116:117]
	v_add_f64 v[38:39], v[146:147], -v[32:33]
	;; [unrolled: 1-line block ×10, first 2 shown]
	v_fma_f64 v[120:121], v[144:145], 2.0, -v[36:37]
	v_fma_f64 v[122:123], v[146:147], 2.0, -v[38:39]
	;; [unrolled: 1-line block ×10, first 2 shown]
	ds_write_b128 v235, v[36:39] offset:176
	ds_write_b128 v235, v[120:123]
	ds_write_b128 v234, v[128:131]
	ds_write_b128 v234, v[40:43] offset:176
	ds_write_b128 v233, v[132:135]
	ds_write_b128 v233, v[116:119] offset:176
	;; [unrolled: 2-line block ×4, first 2 shown]
	s_waitcnt lgkmcnt(0)
	s_barrier
	buffer_gl0_inv
	ds_read_b128 v[36:39], v227
	ds_read_b128 v[132:135], v227 offset:3520
	ds_read_b128 v[128:131], v227 offset:7040
	;; [unrolled: 1-line block ×6, first 2 shown]
	s_and_saveexec_b32 s1, s0
	s_cbranch_execz .LBB0_19
; %bb.18:
	ds_read_b128 v[24:27], v227 offset:2464
	ds_read_b128 v[32:35], v227 offset:5984
	;; [unrolled: 1-line block ×7, first 2 shown]
.LBB0_19:
	s_or_b32 exec_lo, exec_lo, s1
	s_waitcnt lgkmcnt(5)
	v_mul_f64 v[140:141], v[62:63], v[134:135]
	v_mul_f64 v[62:63], v[62:63], v[132:133]
	s_waitcnt lgkmcnt(4)
	v_mul_f64 v[142:143], v[58:59], v[130:131]
	v_mul_f64 v[58:59], v[58:59], v[128:129]
	;; [unrolled: 3-line block ×3, first 2 shown]
	v_mul_f64 v[146:147], v[54:55], v[122:123]
	v_mul_f64 v[54:55], v[54:55], v[120:121]
	;; [unrolled: 1-line block ×6, first 2 shown]
	s_mov_b32 s10, 0x37e14327
	s_mov_b32 s18, 0xe976ee23
	;; [unrolled: 1-line block ×10, first 2 shown]
	v_fma_f64 v[132:133], v[60:61], v[132:133], v[140:141]
	v_fma_f64 v[60:61], v[60:61], v[134:135], -v[62:63]
	v_fma_f64 v[62:63], v[56:57], v[128:129], v[142:143]
	v_fma_f64 v[56:57], v[56:57], v[130:131], -v[58:59]
	v_fma_f64 v[58:59], v[64:65], v[136:137], v[144:145]
	v_fma_f64 v[64:65], v[64:65], v[138:139], -v[66:67]
	v_fma_f64 v[66:67], v[52:53], v[120:121], v[146:147]
	v_fma_f64 v[52:53], v[52:53], v[122:123], -v[54:55]
	v_fma_f64 v[54:55], v[44:45], v[116:117], v[148:149]
	v_fma_f64 v[44:45], v[44:45], v[118:119], -v[46:47]
	v_fma_f64 v[40:41], v[48:49], v[40:41], v[150:151]
	v_fma_f64 v[42:43], v[48:49], v[42:43], -v[50:51]
	s_mov_b32 s17, 0xbff2aaaa
	s_mov_b32 s20, 0x5476071b
	;; [unrolled: 1-line block ×10, first 2 shown]
	s_barrier
	buffer_gl0_inv
	v_add_f64 v[46:47], v[132:133], v[58:59]
	v_add_f64 v[48:49], v[60:61], v[64:65]
	;; [unrolled: 1-line block ×4, first 2 shown]
	v_add_f64 v[62:63], v[62:63], -v[66:67]
	v_add_f64 v[52:53], v[56:57], -v[52:53]
	v_add_f64 v[56:57], v[54:55], v[40:41]
	v_add_f64 v[66:67], v[44:45], v[42:43]
	v_add_f64 v[40:41], v[40:41], -v[54:55]
	v_add_f64 v[42:43], v[42:43], -v[44:45]
	;; [unrolled: 1-line block ×4, first 2 shown]
	v_add_f64 v[58:59], v[50:51], v[46:47]
	v_add_f64 v[60:61], v[116:117], v[48:49]
	v_add_f64 v[64:65], v[46:47], -v[56:57]
	v_add_f64 v[118:119], v[48:49], -v[66:67]
	;; [unrolled: 1-line block ×6, first 2 shown]
	v_add_f64 v[62:63], v[40:41], v[62:63]
	v_add_f64 v[52:53], v[42:43], v[52:53]
	v_add_f64 v[40:41], v[44:45], -v[40:41]
	v_add_f64 v[42:43], v[54:55], -v[42:43]
	;; [unrolled: 1-line block ×4, first 2 shown]
	v_add_f64 v[58:59], v[56:57], v[58:59]
	v_add_f64 v[60:61], v[66:67], v[60:61]
	v_add_f64 v[56:57], v[56:57], -v[50:51]
	v_add_f64 v[66:67], v[66:67], -v[116:117]
	v_mul_f64 v[64:65], v[64:65], s[10:11]
	v_mul_f64 v[118:119], v[118:119], s[10:11]
	;; [unrolled: 1-line block ×6, first 2 shown]
	v_add_f64 v[44:45], v[62:63], v[44:45]
	v_add_f64 v[52:53], v[52:53], v[54:55]
	v_add_f64 v[36:37], v[36:37], v[58:59]
	v_add_f64 v[38:39], v[38:39], v[60:61]
	v_mul_f64 v[50:51], v[56:57], s[8:9]
	v_mul_f64 v[116:117], v[66:67], s[8:9]
	v_fma_f64 v[54:55], v[56:57], s[8:9], v[64:65]
	v_fma_f64 v[56:57], v[66:67], s[8:9], v[118:119]
	;; [unrolled: 1-line block ×4, first 2 shown]
	v_fma_f64 v[120:121], v[128:129], s[2:3], -v[120:121]
	v_fma_f64 v[122:123], v[130:131], s[2:3], -v[122:123]
	;; [unrolled: 1-line block ×6, first 2 shown]
	v_fma_f64 v[58:59], v[58:59], s[16:17], v[36:37]
	v_fma_f64 v[60:61], v[60:61], s[16:17], v[38:39]
	v_fma_f64 v[46:47], v[46:47], s[20:21], -v[50:51]
	v_fma_f64 v[48:49], v[48:49], s[20:21], -v[116:117]
	v_fma_f64 v[62:63], v[44:45], s[28:29], v[62:63]
	v_fma_f64 v[66:67], v[52:53], s[28:29], v[66:67]
	;; [unrolled: 1-line block ×6, first 2 shown]
	v_add_f64 v[130:131], v[54:55], v[58:59]
	v_add_f64 v[132:133], v[56:57], v[60:61]
	;; [unrolled: 1-line block ×7, first 2 shown]
	v_add_f64 v[42:43], v[132:133], -v[62:63]
	v_add_f64 v[44:45], v[128:129], v[56:57]
	v_add_f64 v[46:47], v[64:65], -v[122:123]
	v_add_f64 v[48:49], v[52:53], -v[120:121]
	v_add_f64 v[50:51], v[116:117], v[54:55]
	v_add_f64 v[52:53], v[120:121], v[52:53]
	v_add_f64 v[54:55], v[54:55], -v[116:117]
	v_add_f64 v[56:57], v[56:57], -v[128:129]
	v_add_f64 v[58:59], v[122:123], v[64:65]
	v_add_f64 v[60:61], v[130:131], -v[66:67]
	v_add_f64 v[62:63], v[62:63], v[132:133]
	ds_write_b128 v236, v[36:39]
	ds_write_b128 v236, v[40:43] offset:352
	ds_write_b128 v236, v[44:47] offset:704
	;; [unrolled: 1-line block ×6, first 2 shown]
	s_and_saveexec_b32 s1, s0
	s_cbranch_execz .LBB0_21
; %bb.20:
	v_mul_f64 v[36:37], v[22:23], v[92:93]
	v_mul_f64 v[38:39], v[10:11], v[32:33]
	;; [unrolled: 1-line block ×12, first 2 shown]
	v_fma_f64 v[36:37], v[20:21], v[94:95], -v[36:37]
	v_fma_f64 v[34:35], v[8:9], v[34:35], -v[38:39]
	;; [unrolled: 1-line block ×4, first 2 shown]
	v_fma_f64 v[8:9], v[8:9], v[32:33], v[10:11]
	v_fma_f64 v[10:11], v[20:21], v[92:93], v[22:23]
	;; [unrolled: 1-line block ×6, first 2 shown]
	v_fma_f64 v[0:1], v[0:1], v[126:127], -v[2:3]
	v_fma_f64 v[2:3], v[12:13], v[86:87], -v[14:15]
	v_add_f64 v[12:13], v[34:35], v[36:37]
	v_add_f64 v[14:15], v[30:31], v[38:39]
	;; [unrolled: 1-line block ×3, first 2 shown]
	v_add_f64 v[8:9], v[8:9], -v[10:11]
	v_add_f64 v[22:23], v[4:5], v[6:7]
	v_add_f64 v[4:5], v[4:5], -v[6:7]
	v_add_f64 v[28:29], v[16:17], -v[18:19]
	v_add_f64 v[16:17], v[18:19], v[16:17]
	v_add_f64 v[6:7], v[0:1], v[2:3]
	v_add_f64 v[0:1], v[2:3], -v[0:1]
	v_add_f64 v[2:3], v[30:31], -v[38:39]
	v_add_f64 v[18:19], v[34:35], -v[36:37]
	v_add_f64 v[10:11], v[14:15], v[12:13]
	v_add_f64 v[30:31], v[22:23], v[20:21]
	v_add_f64 v[38:39], v[4:5], -v[8:9]
	v_add_f64 v[32:33], v[28:29], -v[4:5]
	;; [unrolled: 1-line block ×7, first 2 shown]
	v_add_f64 v[4:5], v[28:29], v[4:5]
	v_add_f64 v[28:29], v[0:1], v[2:3]
	v_add_f64 v[48:49], v[18:19], -v[0:1]
	v_add_f64 v[12:13], v[14:15], -v[12:13]
	;; [unrolled: 1-line block ×3, first 2 shown]
	v_add_f64 v[10:11], v[6:7], v[10:11]
	v_add_f64 v[6:7], v[6:7], -v[14:15]
	v_add_f64 v[30:31], v[16:17], v[30:31]
	v_add_f64 v[16:17], v[16:17], -v[22:23]
	v_mul_f64 v[32:33], v[32:33], s[18:19]
	v_mul_f64 v[36:37], v[36:37], s[10:11]
	;; [unrolled: 1-line block ×4, first 2 shown]
	v_add_f64 v[4:5], v[4:5], v[8:9]
	v_add_f64 v[8:9], v[28:29], v[18:19]
	;; [unrolled: 1-line block ×3, first 2 shown]
	v_mul_f64 v[14:15], v[6:7], s[8:9]
	v_mul_f64 v[26:27], v[40:41], s[18:19]
	;; [unrolled: 1-line block ×3, first 2 shown]
	v_add_f64 v[0:1], v[24:25], v[30:31]
	v_mul_f64 v[22:23], v[16:17], s[8:9]
	v_fma_f64 v[18:19], v[44:45], s[24:25], v[32:33]
	v_fma_f64 v[16:17], v[16:17], s[8:9], v[36:37]
	;; [unrolled: 1-line block ×3, first 2 shown]
	v_fma_f64 v[24:25], v[44:45], s[26:27], -v[46:47]
	v_fma_f64 v[28:29], v[38:39], s[2:3], -v[32:33]
	;; [unrolled: 1-line block ×4, first 2 shown]
	v_fma_f64 v[10:11], v[10:11], s[16:17], v[2:3]
	v_fma_f64 v[12:13], v[12:13], s[20:21], -v[14:15]
	v_fma_f64 v[14:15], v[48:49], s[24:25], v[26:27]
	v_fma_f64 v[34:35], v[48:49], s[26:27], -v[40:41]
	;; [unrolled: 2-line block ×3, first 2 shown]
	v_fma_f64 v[20:21], v[20:21], s[20:21], -v[22:23]
	v_fma_f64 v[38:39], v[4:5], s[28:29], v[18:19]
	v_fma_f64 v[22:23], v[4:5], s[28:29], v[24:25]
	;; [unrolled: 1-line block ×3, first 2 shown]
	v_add_f64 v[24:25], v[6:7], v[10:11]
	v_add_f64 v[28:29], v[32:33], v[10:11]
	v_fma_f64 v[32:33], v[8:9], s[28:29], v[14:15]
	v_fma_f64 v[34:35], v[8:9], s[28:29], v[34:35]
	v_add_f64 v[40:41], v[16:17], v[30:31]
	v_add_f64 v[36:37], v[36:37], v[30:31]
	;; [unrolled: 1-line block ×3, first 2 shown]
	v_fma_f64 v[8:9], v[8:9], s[28:29], v[26:27]
	v_add_f64 v[30:31], v[20:21], v[30:31]
	v_add_f64 v[6:7], v[38:39], v[24:25]
	v_add_f64 v[26:27], v[24:25], -v[38:39]
	v_add_f64 v[10:11], v[22:23], v[28:29]
	v_add_f64 v[22:23], v[28:29], -v[22:23]
	v_add_f64 v[24:25], v[32:33], v[40:41]
	v_add_f64 v[20:21], v[34:35], v[36:37]
	;; [unrolled: 1-line block ×3, first 2 shown]
	v_add_f64 v[14:15], v[12:13], -v[4:5]
	v_add_f64 v[16:17], v[30:31], -v[8:9]
	v_add_f64 v[12:13], v[8:9], v[30:31]
	v_add_f64 v[8:9], v[36:37], -v[34:35]
	v_add_f64 v[4:5], v[40:41], -v[32:33]
	v_mad_u16 v28, 0x9a, v229, v230
	v_mov_b32_e32 v29, 4
	v_lshlrev_b32_sdwa v28, v29, v28 dst_sel:DWORD dst_unused:UNUSED_PAD src0_sel:DWORD src1_sel:WORD_0
	ds_write_b128 v28, v[0:3]
	ds_write_b128 v28, v[24:27] offset:352
	ds_write_b128 v28, v[20:23] offset:704
	;; [unrolled: 1-line block ×6, first 2 shown]
.LBB0_21:
	s_or_b32 exec_lo, exec_lo, s1
	s_waitcnt lgkmcnt(0)
	s_barrier
	buffer_gl0_inv
	ds_read_b128 v[0:3], v227 offset:4928
	ds_read_b128 v[4:7], v227 offset:9856
	;; [unrolled: 1-line block ×8, first 2 shown]
	s_mov_b32 s2, 0x134454ff
	s_mov_b32 s3, 0xbfee6f0e
	;; [unrolled: 1-line block ×8, first 2 shown]
	s_waitcnt lgkmcnt(7)
	v_mul_f64 v[32:33], v[70:71], v[2:3]
	s_waitcnt lgkmcnt(6)
	v_mul_f64 v[36:37], v[82:83], v[6:7]
	v_mul_f64 v[38:39], v[82:83], v[4:5]
	s_waitcnt lgkmcnt(5)
	v_mul_f64 v[40:41], v[78:79], v[10:11]
	;; [unrolled: 3-line block ×3, first 2 shown]
	v_mul_f64 v[34:35], v[70:71], v[0:1]
	v_mul_f64 v[42:43], v[74:75], v[12:13]
	s_waitcnt lgkmcnt(2)
	v_mul_f64 v[52:53], v[82:83], v[22:23]
	v_mul_f64 v[54:55], v[82:83], v[20:21]
	s_waitcnt lgkmcnt(1)
	v_mul_f64 v[56:57], v[78:79], v[26:27]
	v_mul_f64 v[58:59], v[78:79], v[24:25]
	v_mul_f64 v[48:49], v[70:71], v[18:19]
	v_mul_f64 v[50:51], v[70:71], v[16:17]
	s_waitcnt lgkmcnt(0)
	v_mul_f64 v[60:61], v[74:75], v[30:31]
	v_mul_f64 v[62:63], v[74:75], v[28:29]
	v_fma_f64 v[32:33], v[68:69], v[0:1], v[32:33]
	v_fma_f64 v[36:37], v[80:81], v[4:5], v[36:37]
	v_fma_f64 v[38:39], v[80:81], v[6:7], -v[38:39]
	v_fma_f64 v[8:9], v[76:77], v[8:9], v[40:41]
	v_fma_f64 v[10:11], v[76:77], v[10:11], -v[44:45]
	;; [unrolled: 2-line block ×3, first 2 shown]
	v_fma_f64 v[14:15], v[72:73], v[14:15], -v[42:43]
	v_fma_f64 v[20:21], v[80:81], v[20:21], v[52:53]
	v_fma_f64 v[22:23], v[80:81], v[22:23], -v[54:55]
	v_fma_f64 v[24:25], v[76:77], v[24:25], v[56:57]
	;; [unrolled: 2-line block ×4, first 2 shown]
	v_fma_f64 v[30:31], v[72:73], v[30:31], -v[62:63]
	ds_read_b128 v[0:3], v227
	ds_read_b128 v[4:7], v227 offset:2464
	s_waitcnt lgkmcnt(0)
	s_barrier
	buffer_gl0_inv
	v_add_f64 v[48:49], v[32:33], -v[36:37]
	v_add_f64 v[54:55], v[36:37], -v[32:33]
	v_add_f64 v[42:43], v[36:37], v[8:9]
	v_add_f64 v[60:61], v[38:39], v[10:11]
	;; [unrolled: 1-line block ×3, first 2 shown]
	v_add_f64 v[50:51], v[12:13], -v[8:9]
	v_add_f64 v[66:67], v[34:35], v[14:15]
	v_add_f64 v[44:45], v[34:35], -v[14:15]
	v_add_f64 v[46:47], v[38:39], -v[10:11]
	v_add_f64 v[70:71], v[20:21], v[24:25]
	v_add_f64 v[80:81], v[22:23], v[26:27]
	v_add_f64 v[56:57], v[8:9], -v[12:13]
	v_add_f64 v[64:65], v[34:35], -v[38:39]
	v_add_f64 v[40:41], v[0:1], v[32:33]
	v_add_f64 v[74:75], v[16:17], v[28:29]
	;; [unrolled: 1-line block ×4, first 2 shown]
	v_add_f64 v[32:33], v[32:33], -v[12:13]
	v_add_f64 v[68:69], v[14:15], -v[10:11]
	;; [unrolled: 1-line block ×5, first 2 shown]
	v_add_f64 v[76:77], v[4:5], v[16:17]
	v_add_f64 v[94:95], v[6:7], v[18:19]
	v_fma_f64 v[42:43], v[42:43], -0.5, v[0:1]
	v_fma_f64 v[60:61], v[60:61], -0.5, v[2:3]
	;; [unrolled: 1-line block ×3, first 2 shown]
	v_add_f64 v[78:79], v[18:19], -v[30:31]
	v_fma_f64 v[2:3], v[66:67], -0.5, v[2:3]
	v_add_f64 v[86:87], v[16:17], -v[20:21]
	v_add_f64 v[90:91], v[20:21], -v[16:17]
	;; [unrolled: 1-line block ×3, first 2 shown]
	v_fma_f64 v[70:71], v[70:71], -0.5, v[4:5]
	v_add_f64 v[84:85], v[22:23], -v[26:27]
	v_add_f64 v[88:89], v[28:29], -v[24:25]
	v_add_f64 v[36:37], v[40:41], v[36:37]
	v_add_f64 v[40:41], v[48:49], v[50:51]
	v_fma_f64 v[48:49], v[80:81], -0.5, v[6:7]
	v_add_f64 v[52:53], v[20:21], -v[24:25]
	v_fma_f64 v[4:5], v[74:75], -0.5, v[4:5]
	v_fma_f64 v[6:7], v[82:83], -0.5, v[6:7]
	v_add_f64 v[38:39], v[58:59], v[38:39]
	v_add_f64 v[116:117], v[18:19], -v[22:23]
	v_add_f64 v[18:19], v[22:23], -v[18:19]
	;; [unrolled: 1-line block ×3, first 2 shown]
	v_add_f64 v[50:51], v[54:55], v[56:57]
	v_add_f64 v[54:55], v[64:65], v[68:69]
	v_fma_f64 v[58:59], v[44:45], s[2:3], v[42:43]
	v_fma_f64 v[42:43], v[44:45], s[10:11], v[42:43]
	;; [unrolled: 1-line block ×5, first 2 shown]
	v_add_f64 v[34:35], v[34:35], v[72:73]
	v_fma_f64 v[72:73], v[62:63], s[2:3], v[2:3]
	v_fma_f64 v[2:3], v[62:63], s[10:11], v[2:3]
	;; [unrolled: 1-line block ×3, first 2 shown]
	v_add_f64 v[20:21], v[76:77], v[20:21]
	v_add_f64 v[22:23], v[94:95], v[22:23]
	v_add_f64 v[66:67], v[30:31], -v[26:27]
	v_fma_f64 v[76:77], v[78:79], s[2:3], v[70:71]
	v_fma_f64 v[82:83], v[16:17], s[10:11], v[48:49]
	v_add_f64 v[92:93], v[24:25], -v[28:29]
	v_add_f64 v[56:57], v[86:87], v[88:89]
	v_fma_f64 v[80:81], v[84:85], s[10:11], v[4:5]
	v_fma_f64 v[86:87], v[52:53], s[2:3], v[6:7]
	;; [unrolled: 1-line block ×6, first 2 shown]
	v_add_f64 v[8:9], v[36:37], v[8:9]
	v_add_f64 v[10:11], v[38:39], v[10:11]
	;; [unrolled: 1-line block ×3, first 2 shown]
	v_fma_f64 v[18:19], v[46:47], s[0:1], v[58:59]
	v_fma_f64 v[36:37], v[46:47], s[8:9], v[42:43]
	;; [unrolled: 1-line block ×8, first 2 shown]
	v_add_f64 v[20:21], v[20:21], v[24:25]
	v_add_f64 v[22:23], v[22:23], v[26:27]
	;; [unrolled: 1-line block ×3, first 2 shown]
	v_fma_f64 v[24:25], v[84:85], s[0:1], v[76:77]
	v_fma_f64 v[26:27], v[52:53], s[8:9], v[82:83]
	v_add_f64 v[74:75], v[90:91], v[92:93]
	v_fma_f64 v[62:63], v[78:79], s[0:1], v[80:81]
	v_fma_f64 v[68:69], v[16:17], s[8:9], v[86:87]
	;; [unrolled: 1-line block ×6, first 2 shown]
	s_mov_b32 s0, 0x372fe950
	s_mov_b32 s1, 0x3fd3c6ef
	v_add_f64 v[0:1], v[8:9], v[12:13]
	v_add_f64 v[2:3], v[10:11], v[14:15]
	v_fma_f64 v[4:5], v[40:41], s[0:1], v[18:19]
	v_fma_f64 v[12:13], v[50:51], s[0:1], v[38:39]
	;; [unrolled: 1-line block ×8, first 2 shown]
	v_add_f64 v[20:21], v[20:21], v[28:29]
	v_add_f64 v[22:23], v[22:23], v[30:31]
	v_fma_f64 v[24:25], v[56:57], s[0:1], v[24:25]
	v_fma_f64 v[26:27], v[66:67], s[0:1], v[26:27]
	v_fma_f64 v[32:33], v[74:75], s[0:1], v[62:63]
	v_fma_f64 v[34:35], v[88:89], s[0:1], v[68:69]
	v_fma_f64 v[28:29], v[56:57], s[0:1], v[60:61]
	v_fma_f64 v[36:37], v[74:75], s[0:1], v[64:65]
	v_fma_f64 v[38:39], v[88:89], s[0:1], v[70:71]
	v_fma_f64 v[30:31], v[66:67], s[0:1], v[48:49]
	ds_write_b128 v227, v[0:3]
	ds_write_b128 v227, v[4:7] offset:2464
	ds_write_b128 v227, v[12:15] offset:4928
	ds_write_b128 v227, v[16:19] offset:7392
	ds_write_b128 v227, v[8:11] offset:9856
	ds_write_b128 v227, v[20:23] offset:12320
	ds_write_b128 v227, v[24:27] offset:14784
	ds_write_b128 v227, v[32:35] offset:17248
	ds_write_b128 v227, v[36:39] offset:19712
	ds_write_b128 v227, v[28:31] offset:22176
	s_waitcnt lgkmcnt(0)
	s_barrier
	buffer_gl0_inv
	ds_read_b128 v[0:3], v227 offset:12320
	ds_read_b128 v[4:7], v227 offset:14784
	;; [unrolled: 1-line block ×6, first 2 shown]
	ds_read_b128 v[24:27], v227
	ds_read_b128 v[28:31], v227 offset:2464
	ds_read_b128 v[32:35], v227 offset:4928
	;; [unrolled: 1-line block ×3, first 2 shown]
	s_waitcnt lgkmcnt(9)
	v_mul_f64 v[40:41], v[102:103], v[2:3]
	v_mul_f64 v[42:43], v[102:103], v[0:1]
	s_waitcnt lgkmcnt(8)
	v_mul_f64 v[44:45], v[98:99], v[6:7]
	v_mul_f64 v[46:47], v[98:99], v[4:5]
	;; [unrolled: 3-line block ×5, first 2 shown]
	v_fma_f64 v[0:1], v[100:101], v[0:1], v[40:41]
	v_fma_f64 v[2:3], v[100:101], v[2:3], -v[42:43]
	v_fma_f64 v[4:5], v[96:97], v[4:5], v[44:45]
	v_fma_f64 v[6:7], v[96:97], v[6:7], -v[46:47]
	;; [unrolled: 2-line block ×5, first 2 shown]
	s_waitcnt lgkmcnt(3)
	v_add_f64 v[0:1], v[24:25], -v[0:1]
	v_add_f64 v[2:3], v[26:27], -v[2:3]
	s_waitcnt lgkmcnt(2)
	v_add_f64 v[4:5], v[28:29], -v[4:5]
	v_add_f64 v[6:7], v[30:31], -v[6:7]
	;; [unrolled: 3-line block ×4, first 2 shown]
	v_add_f64 v[16:17], v[20:21], -v[16:17]
	v_add_f64 v[18:19], v[22:23], -v[18:19]
	v_fma_f64 v[24:25], v[24:25], 2.0, -v[0:1]
	v_fma_f64 v[26:27], v[26:27], 2.0, -v[2:3]
	;; [unrolled: 1-line block ×10, first 2 shown]
	ds_write_b128 v227, v[0:3] offset:12320
	ds_write_b128 v227, v[4:7] offset:14784
	;; [unrolled: 1-line block ×5, first 2 shown]
	ds_write_b128 v227, v[24:27]
	ds_write_b128 v227, v[28:31] offset:2464
	ds_write_b128 v227, v[32:35] offset:4928
	;; [unrolled: 1-line block ×4, first 2 shown]
	s_waitcnt lgkmcnt(0)
	s_barrier
	buffer_gl0_inv
	s_and_b32 exec_lo, exec_lo, vcc_lo
	s_cbranch_execz .LBB0_23
; %bb.22:
	v_add_co_u32 v34, s0, s14, v225
	v_add_co_ci_u32_e64 v35, null, s15, 0, s0
	v_mad_u64_u32 v[48:49], null, s4, v226, 0
	v_add_co_u32 v4, vcc_lo, 0x800, v34
	v_add_co_ci_u32_e32 v5, vcc_lo, 0, v35, vcc_lo
	v_add_co_u32 v8, vcc_lo, 0x1000, v34
	v_add_co_ci_u32_e32 v9, vcc_lo, 0, v35, vcc_lo
	;; [unrolled: 2-line block ×8, first 2 shown]
	s_clause 0x2
	global_load_dwordx4 v[0:3], v225, s[14:15]
	global_load_dwordx4 v[4:7], v[4:5], off offset:192
	global_load_dwordx4 v[8:11], v[8:9], off offset:384
	v_add_co_u32 v36, vcc_lo, 0x4800, v34
	v_add_co_ci_u32_e32 v37, vcc_lo, 0, v35, vcc_lo
	v_add_co_u32 v40, vcc_lo, 0x5000, v34
	s_clause 0x4
	global_load_dwordx4 v[12:15], v[12:13], off offset:576
	global_load_dwordx4 v[16:19], v[16:17], off offset:768
	;; [unrolled: 1-line block ×5, first 2 shown]
	v_add_co_ci_u32_e32 v41, vcc_lo, 0, v35, vcc_lo
	s_clause 0x2
	global_load_dwordx4 v[32:35], v[32:33], off offset:1536
	global_load_dwordx4 v[36:39], v[36:37], off offset:1728
	;; [unrolled: 1-line block ×3, first 2 shown]
	v_mad_u64_u32 v[44:45], null, s6, v164, 0
	v_mov_b32_e32 v46, v49
	s_mul_i32 s0, s5, 0x8c0
	s_mul_hi_u32 s1, s4, 0x8c0
	s_mul_i32 s2, s4, 0x8c0
	s_add_i32 s3, s1, s0
	s_mov_b32 s0, 0xe6bb82fe
	v_mad_u64_u32 v[49:50], null, s7, v164, v[45:46]
	v_mad_u64_u32 v[46:47], null, s5, v226, v[46:47]
	s_mov_b32 s1, 0x3f454725
	v_mov_b32_e32 v45, v49
	v_mov_b32_e32 v49, v46
	v_lshlrev_b64 v[50:51], 4, v[44:45]
	ds_read_b128 v[44:47], v227
	v_lshlrev_b64 v[48:49], 4, v[48:49]
	v_add_co_u32 v50, vcc_lo, s12, v50
	v_add_co_ci_u32_e32 v51, vcc_lo, s13, v51, vcc_lo
	v_add_co_u32 v88, vcc_lo, v50, v48
	v_add_co_ci_u32_e32 v89, vcc_lo, v51, v49, vcc_lo
	ds_read_b128 v[48:51], v225 offset:2240
	ds_read_b128 v[52:55], v225 offset:4480
	;; [unrolled: 1-line block ×10, first 2 shown]
	v_add_co_u32 v90, vcc_lo, v88, s2
	v_add_co_ci_u32_e32 v91, vcc_lo, s3, v89, vcc_lo
	v_add_co_u32 v92, vcc_lo, v90, s2
	v_add_co_ci_u32_e32 v93, vcc_lo, s3, v91, vcc_lo
	;; [unrolled: 2-line block ×7, first 2 shown]
	s_waitcnt vmcnt(10) lgkmcnt(10)
	v_mul_f64 v[104:105], v[46:47], v[2:3]
	v_mul_f64 v[2:3], v[44:45], v[2:3]
	s_waitcnt vmcnt(9) lgkmcnt(9)
	v_mul_f64 v[106:107], v[50:51], v[6:7]
	v_mul_f64 v[6:7], v[48:49], v[6:7]
	;; [unrolled: 3-line block ×11, first 2 shown]
	v_fma_f64 v[44:45], v[44:45], v[0:1], v[104:105]
	v_fma_f64 v[2:3], v[0:1], v[46:47], -v[2:3]
	v_fma_f64 v[46:47], v[48:49], v[4:5], v[106:107]
	v_fma_f64 v[6:7], v[4:5], v[50:51], -v[6:7]
	;; [unrolled: 2-line block ×11, first 2 shown]
	v_mul_f64 v[0:1], v[44:45], s[0:1]
	v_mul_f64 v[2:3], v[2:3], s[0:1]
	v_mul_f64 v[4:5], v[46:47], s[0:1]
	v_mul_f64 v[6:7], v[6:7], s[0:1]
	v_mul_f64 v[8:9], v[48:49], s[0:1]
	v_mul_f64 v[10:11], v[10:11], s[0:1]
	v_mul_f64 v[12:13], v[50:51], s[0:1]
	v_mul_f64 v[14:15], v[14:15], s[0:1]
	v_mul_f64 v[16:17], v[52:53], s[0:1]
	v_mul_f64 v[18:19], v[18:19], s[0:1]
	v_mul_f64 v[20:21], v[54:55], s[0:1]
	v_mul_f64 v[22:23], v[22:23], s[0:1]
	v_mul_f64 v[24:25], v[56:57], s[0:1]
	v_mul_f64 v[26:27], v[26:27], s[0:1]
	v_mul_f64 v[28:29], v[58:59], s[0:1]
	v_mul_f64 v[30:31], v[30:31], s[0:1]
	v_mul_f64 v[32:33], v[60:61], s[0:1]
	v_mul_f64 v[34:35], v[34:35], s[0:1]
	v_mul_f64 v[36:37], v[62:63], s[0:1]
	v_mul_f64 v[38:39], v[38:39], s[0:1]
	v_mul_f64 v[40:41], v[64:65], s[0:1]
	v_mul_f64 v[42:43], v[42:43], s[0:1]
	v_add_co_u32 v44, vcc_lo, v102, s2
	v_add_co_ci_u32_e32 v45, vcc_lo, s3, v103, vcc_lo
	v_add_co_u32 v46, vcc_lo, v44, s2
	v_add_co_ci_u32_e32 v47, vcc_lo, s3, v45, vcc_lo
	;; [unrolled: 2-line block ×3, first 2 shown]
	global_store_dwordx4 v[88:89], v[0:3], off
	global_store_dwordx4 v[90:91], v[4:7], off
	;; [unrolled: 1-line block ×11, first 2 shown]
.LBB0_23:
	s_endpgm
	.section	.rodata,"a",@progbits
	.p2align	6, 0x0
	.amdhsa_kernel bluestein_single_back_len1540_dim1_dp_op_CI_CI
		.amdhsa_group_segment_fixed_size 24640
		.amdhsa_private_segment_fixed_size 0
		.amdhsa_kernarg_size 104
		.amdhsa_user_sgpr_count 6
		.amdhsa_user_sgpr_private_segment_buffer 1
		.amdhsa_user_sgpr_dispatch_ptr 0
		.amdhsa_user_sgpr_queue_ptr 0
		.amdhsa_user_sgpr_kernarg_segment_ptr 1
		.amdhsa_user_sgpr_dispatch_id 0
		.amdhsa_user_sgpr_flat_scratch_init 0
		.amdhsa_user_sgpr_private_segment_size 0
		.amdhsa_wavefront_size32 1
		.amdhsa_uses_dynamic_stack 0
		.amdhsa_system_sgpr_private_segment_wavefront_offset 0
		.amdhsa_system_sgpr_workgroup_id_x 1
		.amdhsa_system_sgpr_workgroup_id_y 0
		.amdhsa_system_sgpr_workgroup_id_z 0
		.amdhsa_system_sgpr_workgroup_info 0
		.amdhsa_system_vgpr_workitem_id 0
		.amdhsa_next_free_vgpr 245
		.amdhsa_next_free_sgpr 40
		.amdhsa_reserve_vcc 1
		.amdhsa_reserve_flat_scratch 0
		.amdhsa_float_round_mode_32 0
		.amdhsa_float_round_mode_16_64 0
		.amdhsa_float_denorm_mode_32 3
		.amdhsa_float_denorm_mode_16_64 3
		.amdhsa_dx10_clamp 1
		.amdhsa_ieee_mode 1
		.amdhsa_fp16_overflow 0
		.amdhsa_workgroup_processor_mode 1
		.amdhsa_memory_ordered 1
		.amdhsa_forward_progress 0
		.amdhsa_shared_vgpr_count 0
		.amdhsa_exception_fp_ieee_invalid_op 0
		.amdhsa_exception_fp_denorm_src 0
		.amdhsa_exception_fp_ieee_div_zero 0
		.amdhsa_exception_fp_ieee_overflow 0
		.amdhsa_exception_fp_ieee_underflow 0
		.amdhsa_exception_fp_ieee_inexact 0
		.amdhsa_exception_int_div_zero 0
	.end_amdhsa_kernel
	.text
.Lfunc_end0:
	.size	bluestein_single_back_len1540_dim1_dp_op_CI_CI, .Lfunc_end0-bluestein_single_back_len1540_dim1_dp_op_CI_CI
                                        ; -- End function
	.section	.AMDGPU.csdata,"",@progbits
; Kernel info:
; codeLenInByte = 19484
; NumSgprs: 42
; NumVgprs: 245
; ScratchSize: 0
; MemoryBound: 0
; FloatMode: 240
; IeeeMode: 1
; LDSByteSize: 24640 bytes/workgroup (compile time only)
; SGPRBlocks: 5
; VGPRBlocks: 30
; NumSGPRsForWavesPerEU: 42
; NumVGPRsForWavesPerEU: 245
; Occupancy: 4
; WaveLimiterHint : 1
; COMPUTE_PGM_RSRC2:SCRATCH_EN: 0
; COMPUTE_PGM_RSRC2:USER_SGPR: 6
; COMPUTE_PGM_RSRC2:TRAP_HANDLER: 0
; COMPUTE_PGM_RSRC2:TGID_X_EN: 1
; COMPUTE_PGM_RSRC2:TGID_Y_EN: 0
; COMPUTE_PGM_RSRC2:TGID_Z_EN: 0
; COMPUTE_PGM_RSRC2:TIDIG_COMP_CNT: 0
	.text
	.p2alignl 6, 3214868480
	.fill 48, 4, 3214868480
	.type	__hip_cuid_c183ae9da974481d,@object ; @__hip_cuid_c183ae9da974481d
	.section	.bss,"aw",@nobits
	.globl	__hip_cuid_c183ae9da974481d
__hip_cuid_c183ae9da974481d:
	.byte	0                               ; 0x0
	.size	__hip_cuid_c183ae9da974481d, 1

	.ident	"AMD clang version 19.0.0git (https://github.com/RadeonOpenCompute/llvm-project roc-6.4.0 25133 c7fe45cf4b819c5991fe208aaa96edf142730f1d)"
	.section	".note.GNU-stack","",@progbits
	.addrsig
	.addrsig_sym __hip_cuid_c183ae9da974481d
	.amdgpu_metadata
---
amdhsa.kernels:
  - .args:
      - .actual_access:  read_only
        .address_space:  global
        .offset:         0
        .size:           8
        .value_kind:     global_buffer
      - .actual_access:  read_only
        .address_space:  global
        .offset:         8
        .size:           8
        .value_kind:     global_buffer
      - .actual_access:  read_only
        .address_space:  global
        .offset:         16
        .size:           8
        .value_kind:     global_buffer
      - .actual_access:  read_only
        .address_space:  global
        .offset:         24
        .size:           8
        .value_kind:     global_buffer
      - .actual_access:  read_only
        .address_space:  global
        .offset:         32
        .size:           8
        .value_kind:     global_buffer
      - .offset:         40
        .size:           8
        .value_kind:     by_value
      - .address_space:  global
        .offset:         48
        .size:           8
        .value_kind:     global_buffer
      - .address_space:  global
        .offset:         56
        .size:           8
        .value_kind:     global_buffer
      - .address_space:  global
        .offset:         64
        .size:           8
        .value_kind:     global_buffer
      - .address_space:  global
        .offset:         72
        .size:           8
        .value_kind:     global_buffer
      - .offset:         80
        .size:           4
        .value_kind:     by_value
      - .address_space:  global
        .offset:         88
        .size:           8
        .value_kind:     global_buffer
      - .address_space:  global
        .offset:         96
        .size:           8
        .value_kind:     global_buffer
    .group_segment_fixed_size: 24640
    .kernarg_segment_align: 8
    .kernarg_segment_size: 104
    .language:       OpenCL C
    .language_version:
      - 2
      - 0
    .max_flat_workgroup_size: 154
    .name:           bluestein_single_back_len1540_dim1_dp_op_CI_CI
    .private_segment_fixed_size: 0
    .sgpr_count:     42
    .sgpr_spill_count: 0
    .symbol:         bluestein_single_back_len1540_dim1_dp_op_CI_CI.kd
    .uniform_work_group_size: 1
    .uses_dynamic_stack: false
    .vgpr_count:     245
    .vgpr_spill_count: 0
    .wavefront_size: 32
    .workgroup_processor_mode: 1
amdhsa.target:   amdgcn-amd-amdhsa--gfx1030
amdhsa.version:
  - 1
  - 2
...

	.end_amdgpu_metadata
